;; amdgpu-corpus repo=ROCm/rocFFT kind=compiled arch=gfx906 opt=O3
	.text
	.amdgcn_target "amdgcn-amd-amdhsa--gfx906"
	.amdhsa_code_object_version 6
	.protected	fft_rtc_fwd_len1360_factors_17_5_16_wgs_255_tpt_85_halfLds_sp_ip_CI_sbrr_dirReg ; -- Begin function fft_rtc_fwd_len1360_factors_17_5_16_wgs_255_tpt_85_halfLds_sp_ip_CI_sbrr_dirReg
	.globl	fft_rtc_fwd_len1360_factors_17_5_16_wgs_255_tpt_85_halfLds_sp_ip_CI_sbrr_dirReg
	.p2align	8
	.type	fft_rtc_fwd_len1360_factors_17_5_16_wgs_255_tpt_85_halfLds_sp_ip_CI_sbrr_dirReg,@function
fft_rtc_fwd_len1360_factors_17_5_16_wgs_255_tpt_85_halfLds_sp_ip_CI_sbrr_dirReg: ; @fft_rtc_fwd_len1360_factors_17_5_16_wgs_255_tpt_85_halfLds_sp_ip_CI_sbrr_dirReg
; %bb.0:
	s_load_dwordx2 s[2:3], s[4:5], 0x18
	s_load_dwordx4 s[8:11], s[4:5], 0x0
	s_load_dwordx2 s[14:15], s[4:5], 0x50
	v_mul_u32_u24_e32 v1, 0x304, v0
	v_lshrrev_b32_e32 v1, 16, v1
	s_waitcnt lgkmcnt(0)
	s_load_dwordx2 s[12:13], s[2:3], 0x0
	v_mad_u64_u32 v[5:6], s[0:1], s6, 3, v[1:2]
	v_mov_b32_e32 v3, 0
	v_cmp_lt_u64_e64 s[0:1], s[10:11], 2
	v_mov_b32_e32 v6, v3
	v_mov_b32_e32 v1, 0
	;; [unrolled: 1-line block ×3, first 2 shown]
	s_and_b64 vcc, exec, s[0:1]
	v_mov_b32_e32 v2, 0
	v_mov_b32_e32 v8, v5
	s_cbranch_vccnz .LBB0_8
; %bb.1:
	s_load_dwordx2 s[0:1], s[4:5], 0x10
	s_add_u32 s6, s2, 8
	s_addc_u32 s7, s3, 0
	v_mov_b32_e32 v1, 0
	v_mov_b32_e32 v7, v6
	s_waitcnt lgkmcnt(0)
	s_add_u32 s18, s0, 8
	s_mov_b64 s[16:17], 1
	v_mov_b32_e32 v2, 0
	s_addc_u32 s19, s1, 0
	v_mov_b32_e32 v6, v5
.LBB0_2:                                ; =>This Inner Loop Header: Depth=1
	s_load_dwordx2 s[20:21], s[18:19], 0x0
                                        ; implicit-def: $vgpr8_vgpr9
	s_waitcnt lgkmcnt(0)
	v_or_b32_e32 v4, s21, v7
	v_cmp_ne_u64_e32 vcc, 0, v[3:4]
	s_and_saveexec_b64 s[0:1], vcc
	s_xor_b64 s[22:23], exec, s[0:1]
	s_cbranch_execz .LBB0_4
; %bb.3:                                ;   in Loop: Header=BB0_2 Depth=1
	v_cvt_f32_u32_e32 v4, s20
	v_cvt_f32_u32_e32 v8, s21
	s_sub_u32 s0, 0, s20
	s_subb_u32 s1, 0, s21
	v_mac_f32_e32 v4, 0x4f800000, v8
	v_rcp_f32_e32 v4, v4
	v_mul_f32_e32 v4, 0x5f7ffffc, v4
	v_mul_f32_e32 v8, 0x2f800000, v4
	v_trunc_f32_e32 v8, v8
	v_mac_f32_e32 v4, 0xcf800000, v8
	v_cvt_u32_f32_e32 v8, v8
	v_cvt_u32_f32_e32 v4, v4
	v_mul_lo_u32 v9, s0, v8
	v_mul_hi_u32 v10, s0, v4
	v_mul_lo_u32 v12, s1, v4
	v_mul_lo_u32 v11, s0, v4
	v_add_u32_e32 v9, v10, v9
	v_add_u32_e32 v9, v9, v12
	v_mul_hi_u32 v10, v4, v11
	v_mul_lo_u32 v12, v4, v9
	v_mul_hi_u32 v14, v4, v9
	v_mul_hi_u32 v13, v8, v11
	v_mul_lo_u32 v11, v8, v11
	v_mul_hi_u32 v15, v8, v9
	v_add_co_u32_e32 v10, vcc, v10, v12
	v_addc_co_u32_e32 v12, vcc, 0, v14, vcc
	v_mul_lo_u32 v9, v8, v9
	v_add_co_u32_e32 v10, vcc, v10, v11
	v_addc_co_u32_e32 v10, vcc, v12, v13, vcc
	v_addc_co_u32_e32 v11, vcc, 0, v15, vcc
	v_add_co_u32_e32 v9, vcc, v10, v9
	v_addc_co_u32_e32 v10, vcc, 0, v11, vcc
	v_add_co_u32_e32 v4, vcc, v4, v9
	v_addc_co_u32_e32 v8, vcc, v8, v10, vcc
	v_mul_lo_u32 v9, s0, v8
	v_mul_hi_u32 v10, s0, v4
	v_mul_lo_u32 v11, s1, v4
	v_mul_lo_u32 v12, s0, v4
	v_add_u32_e32 v9, v10, v9
	v_add_u32_e32 v9, v9, v11
	v_mul_lo_u32 v13, v4, v9
	v_mul_hi_u32 v14, v4, v12
	v_mul_hi_u32 v15, v4, v9
	;; [unrolled: 1-line block ×3, first 2 shown]
	v_mul_lo_u32 v12, v8, v12
	v_mul_hi_u32 v10, v8, v9
	v_add_co_u32_e32 v13, vcc, v14, v13
	v_addc_co_u32_e32 v14, vcc, 0, v15, vcc
	v_mul_lo_u32 v9, v8, v9
	v_add_co_u32_e32 v12, vcc, v13, v12
	v_addc_co_u32_e32 v11, vcc, v14, v11, vcc
	v_addc_co_u32_e32 v10, vcc, 0, v10, vcc
	v_add_co_u32_e32 v9, vcc, v11, v9
	v_addc_co_u32_e32 v10, vcc, 0, v10, vcc
	v_add_co_u32_e32 v4, vcc, v4, v9
	v_addc_co_u32_e32 v10, vcc, v8, v10, vcc
	v_mad_u64_u32 v[8:9], s[0:1], v6, v10, 0
	v_mul_hi_u32 v11, v6, v4
	v_add_co_u32_e32 v12, vcc, v11, v8
	v_addc_co_u32_e32 v13, vcc, 0, v9, vcc
	v_mad_u64_u32 v[8:9], s[0:1], v7, v4, 0
	v_mad_u64_u32 v[10:11], s[0:1], v7, v10, 0
	v_add_co_u32_e32 v4, vcc, v12, v8
	v_addc_co_u32_e32 v4, vcc, v13, v9, vcc
	v_addc_co_u32_e32 v8, vcc, 0, v11, vcc
	v_add_co_u32_e32 v4, vcc, v4, v10
	v_addc_co_u32_e32 v10, vcc, 0, v8, vcc
	v_mul_lo_u32 v11, s21, v4
	v_mul_lo_u32 v12, s20, v10
	v_mad_u64_u32 v[8:9], s[0:1], s20, v4, 0
	v_add3_u32 v9, v9, v12, v11
	v_sub_u32_e32 v11, v7, v9
	v_mov_b32_e32 v12, s21
	v_sub_co_u32_e32 v8, vcc, v6, v8
	v_subb_co_u32_e64 v11, s[0:1], v11, v12, vcc
	v_subrev_co_u32_e64 v12, s[0:1], s20, v8
	v_subbrev_co_u32_e64 v11, s[0:1], 0, v11, s[0:1]
	v_cmp_le_u32_e64 s[0:1], s21, v11
	v_cndmask_b32_e64 v13, 0, -1, s[0:1]
	v_cmp_le_u32_e64 s[0:1], s20, v12
	v_cndmask_b32_e64 v12, 0, -1, s[0:1]
	v_cmp_eq_u32_e64 s[0:1], s21, v11
	v_cndmask_b32_e64 v11, v13, v12, s[0:1]
	v_add_co_u32_e64 v12, s[0:1], 2, v4
	v_addc_co_u32_e64 v13, s[0:1], 0, v10, s[0:1]
	v_add_co_u32_e64 v14, s[0:1], 1, v4
	v_addc_co_u32_e64 v15, s[0:1], 0, v10, s[0:1]
	v_subb_co_u32_e32 v9, vcc, v7, v9, vcc
	v_cmp_ne_u32_e64 s[0:1], 0, v11
	v_cmp_le_u32_e32 vcc, s21, v9
	v_cndmask_b32_e64 v11, v15, v13, s[0:1]
	v_cndmask_b32_e64 v13, 0, -1, vcc
	v_cmp_le_u32_e32 vcc, s20, v8
	v_cndmask_b32_e64 v8, 0, -1, vcc
	v_cmp_eq_u32_e32 vcc, s21, v9
	v_cndmask_b32_e32 v8, v13, v8, vcc
	v_cmp_ne_u32_e32 vcc, 0, v8
	v_cndmask_b32_e64 v8, v14, v12, s[0:1]
	v_cndmask_b32_e32 v9, v10, v11, vcc
	v_cndmask_b32_e32 v8, v4, v8, vcc
.LBB0_4:                                ;   in Loop: Header=BB0_2 Depth=1
	s_andn2_saveexec_b64 s[0:1], s[22:23]
	s_cbranch_execz .LBB0_6
; %bb.5:                                ;   in Loop: Header=BB0_2 Depth=1
	v_cvt_f32_u32_e32 v4, s20
	s_sub_i32 s22, 0, s20
	v_rcp_iflag_f32_e32 v4, v4
	v_mul_f32_e32 v4, 0x4f7ffffe, v4
	v_cvt_u32_f32_e32 v4, v4
	v_mul_lo_u32 v8, s22, v4
	v_mul_hi_u32 v8, v4, v8
	v_add_u32_e32 v4, v4, v8
	v_mul_hi_u32 v4, v6, v4
	v_mul_lo_u32 v8, v4, s20
	v_add_u32_e32 v9, 1, v4
	v_sub_u32_e32 v8, v6, v8
	v_subrev_u32_e32 v10, s20, v8
	v_cmp_le_u32_e32 vcc, s20, v8
	v_cndmask_b32_e32 v8, v8, v10, vcc
	v_cndmask_b32_e32 v4, v4, v9, vcc
	v_add_u32_e32 v9, 1, v4
	v_cmp_le_u32_e32 vcc, s20, v8
	v_cndmask_b32_e32 v8, v4, v9, vcc
	v_mov_b32_e32 v9, v3
.LBB0_6:                                ;   in Loop: Header=BB0_2 Depth=1
	s_or_b64 exec, exec, s[0:1]
	v_mul_lo_u32 v4, v9, s20
	v_mul_lo_u32 v12, v8, s21
	v_mad_u64_u32 v[10:11], s[0:1], v8, s20, 0
	s_load_dwordx2 s[0:1], s[6:7], 0x0
	s_add_u32 s16, s16, 1
	v_add3_u32 v4, v11, v12, v4
	v_sub_co_u32_e32 v6, vcc, v6, v10
	v_subb_co_u32_e32 v4, vcc, v7, v4, vcc
	s_waitcnt lgkmcnt(0)
	v_mul_lo_u32 v4, s0, v4
	v_mul_lo_u32 v7, s1, v6
	v_mad_u64_u32 v[1:2], s[0:1], s0, v6, v[1:2]
	s_addc_u32 s17, s17, 0
	s_add_u32 s6, s6, 8
	v_add3_u32 v2, v7, v2, v4
	v_mov_b32_e32 v6, s10
	v_mov_b32_e32 v7, s11
	s_addc_u32 s7, s7, 0
	v_cmp_ge_u64_e32 vcc, s[16:17], v[6:7]
	s_add_u32 s18, s18, 8
	s_addc_u32 s19, s19, 0
	s_cbranch_vccnz .LBB0_8
; %bb.7:                                ;   in Loop: Header=BB0_2 Depth=1
	v_mov_b32_e32 v6, v8
	v_mov_b32_e32 v7, v9
	s_branch .LBB0_2
.LBB0_8:
	s_lshl_b64 s[0:1], s[10:11], 3
	s_add_u32 s0, s2, s0
	s_addc_u32 s1, s3, s1
	s_load_dwordx2 s[2:3], s[0:1], 0x0
	s_load_dwordx2 s[6:7], s[4:5], 0x20
                                        ; implicit-def: $vgpr19
                                        ; implicit-def: $vgpr21
                                        ; implicit-def: $vgpr23
                                        ; implicit-def: $vgpr25
                                        ; implicit-def: $vgpr27
                                        ; implicit-def: $vgpr31
                                        ; implicit-def: $vgpr33
                                        ; implicit-def: $vgpr37
                                        ; implicit-def: $vgpr7
                                        ; implicit-def: $vgpr11
                                        ; implicit-def: $vgpr13
                                        ; implicit-def: $vgpr15
                                        ; implicit-def: $vgpr17
                                        ; implicit-def: $vgpr35
                                        ; implicit-def: $vgpr29
	s_waitcnt lgkmcnt(0)
	v_mad_u64_u32 v[1:2], s[0:1], s2, v8, v[1:2]
	s_mov_b32 s0, 0x3030304
	v_mul_lo_u32 v3, s2, v9
	v_mul_lo_u32 v4, s3, v8
	v_mul_hi_u32 v6, v0, s0
	v_cmp_gt_u64_e32 vcc, s[6:7], v[8:9]
                                        ; implicit-def: $vgpr9
	v_add3_u32 v2, v4, v2, v3
	v_mul_u32_u24_e32 v3, 0x55, v6
	v_sub_u32_e32 v52, v0, v3
	v_mov_b32_e32 v4, 0
	v_mov_b32_e32 v0, 0
	;; [unrolled: 1-line block ×3, first 2 shown]
	s_and_saveexec_b64 s[2:3], vcc
	s_cbranch_execz .LBB0_12
; %bb.9:
	s_movk_i32 s0, 0x50
	v_cmp_gt_u32_e64 s[0:1], s0, v52
	v_mov_b32_e32 v3, 0
	v_mov_b32_e32 v4, 0
                                        ; implicit-def: $vgpr28
                                        ; implicit-def: $vgpr34
                                        ; implicit-def: $vgpr16
                                        ; implicit-def: $vgpr14
                                        ; implicit-def: $vgpr12
                                        ; implicit-def: $vgpr10
                                        ; implicit-def: $vgpr8
                                        ; implicit-def: $vgpr6
                                        ; implicit-def: $vgpr36
                                        ; implicit-def: $vgpr32
                                        ; implicit-def: $vgpr30
                                        ; implicit-def: $vgpr26
                                        ; implicit-def: $vgpr24
                                        ; implicit-def: $vgpr22
                                        ; implicit-def: $vgpr20
                                        ; implicit-def: $vgpr18
	s_and_saveexec_b64 s[4:5], s[0:1]
	s_cbranch_execz .LBB0_11
; %bb.10:
	v_mad_u64_u32 v[3:4], s[0:1], s12, v52, 0
	v_add_u32_e32 v11, 0x50, v52
	v_mad_u64_u32 v[9:10], s[0:1], s12, v11, 0
	v_mov_b32_e32 v0, v4
	v_mad_u64_u32 v[6:7], s[0:1], s13, v52, v[0:1]
	v_lshlrev_b64 v[7:8], 3, v[1:2]
	v_mov_b32_e32 v0, s15
	v_add_co_u32_e64 v12, s[0:1], s14, v7
	v_addc_co_u32_e64 v13, s[0:1], v0, v8, s[0:1]
	v_mov_b32_e32 v0, v10
	v_mov_b32_e32 v4, v6
	v_mad_u64_u32 v[6:7], s[0:1], s13, v11, v[0:1]
	v_add_u32_e32 v11, 0xa0, v52
	v_mad_u64_u32 v[7:8], s[0:1], s12, v11, 0
	v_lshlrev_b64 v[3:4], 3, v[3:4]
	v_mov_b32_e32 v10, v6
	v_add_co_u32_e64 v28, s[0:1], v12, v3
	v_mov_b32_e32 v0, v8
	v_addc_co_u32_e64 v29, s[0:1], v13, v4, s[0:1]
	v_lshlrev_b64 v[3:4], 3, v[9:10]
	v_mad_u64_u32 v[8:9], s[0:1], s13, v11, v[0:1]
	v_add_u32_e32 v6, 0xf0, v52
	v_mad_u64_u32 v[9:10], s[0:1], s12, v6, 0
	v_add_co_u32_e64 v34, s[0:1], v12, v3
	v_mov_b32_e32 v0, v10
	v_addc_co_u32_e64 v35, s[0:1], v13, v4, s[0:1]
	v_lshlrev_b64 v[3:4], 3, v[7:8]
	v_mad_u64_u32 v[6:7], s[0:1], s13, v6, v[0:1]
	v_add_u32_e32 v11, 0x140, v52
	v_mad_u64_u32 v[7:8], s[0:1], s12, v11, 0
	v_add_co_u32_e64 v38, s[0:1], v12, v3
	v_mov_b32_e32 v10, v6
	v_mov_b32_e32 v0, v8
	v_addc_co_u32_e64 v39, s[0:1], v13, v4, s[0:1]
	v_lshlrev_b64 v[3:4], 3, v[9:10]
	v_mad_u64_u32 v[8:9], s[0:1], s13, v11, v[0:1]
	v_add_u32_e32 v6, 0x190, v52
	v_mad_u64_u32 v[9:10], s[0:1], s12, v6, 0
	v_add_co_u32_e64 v40, s[0:1], v12, v3
	v_mov_b32_e32 v0, v10
	v_addc_co_u32_e64 v41, s[0:1], v13, v4, s[0:1]
	v_lshlrev_b64 v[3:4], 3, v[7:8]
	v_mad_u64_u32 v[6:7], s[0:1], s13, v6, v[0:1]
	v_add_u32_e32 v11, 0x1e0, v52
	v_mad_u64_u32 v[7:8], s[0:1], s12, v11, 0
	v_add_co_u32_e64 v42, s[0:1], v12, v3
	v_mov_b32_e32 v10, v6
	v_mov_b32_e32 v0, v8
	v_addc_co_u32_e64 v43, s[0:1], v13, v4, s[0:1]
	v_lshlrev_b64 v[3:4], 3, v[9:10]
	v_mad_u64_u32 v[8:9], s[0:1], s13, v11, v[0:1]
	v_add_u32_e32 v6, 0x230, v52
	v_mad_u64_u32 v[9:10], s[0:1], s12, v6, 0
	v_add_co_u32_e64 v44, s[0:1], v12, v3
	v_mov_b32_e32 v0, v10
	v_addc_co_u32_e64 v45, s[0:1], v13, v4, s[0:1]
	v_lshlrev_b64 v[3:4], 3, v[7:8]
	v_mad_u64_u32 v[6:7], s[0:1], s13, v6, v[0:1]
	v_or_b32_e32 v11, 0x280, v52
	v_mad_u64_u32 v[7:8], s[0:1], s12, v11, 0
	v_add_co_u32_e64 v46, s[0:1], v12, v3
	v_mov_b32_e32 v10, v6
	v_mov_b32_e32 v0, v8
	v_addc_co_u32_e64 v47, s[0:1], v13, v4, s[0:1]
	v_lshlrev_b64 v[3:4], 3, v[9:10]
	v_mad_u64_u32 v[8:9], s[0:1], s13, v11, v[0:1]
	v_add_u32_e32 v6, 0x2d0, v52
	v_mad_u64_u32 v[9:10], s[0:1], s12, v6, 0
	v_add_co_u32_e64 v48, s[0:1], v12, v3
	v_mov_b32_e32 v0, v10
	v_addc_co_u32_e64 v49, s[0:1], v13, v4, s[0:1]
	v_lshlrev_b64 v[3:4], 3, v[7:8]
	v_mad_u64_u32 v[6:7], s[0:1], s13, v6, v[0:1]
	v_add_u32_e32 v11, 0x320, v52
	v_mad_u64_u32 v[7:8], s[0:1], s12, v11, 0
	v_add_co_u32_e64 v50, s[0:1], v12, v3
	v_mov_b32_e32 v10, v6
	v_mov_b32_e32 v0, v8
	v_addc_co_u32_e64 v51, s[0:1], v13, v4, s[0:1]
	v_lshlrev_b64 v[3:4], 3, v[9:10]
	v_mad_u64_u32 v[8:9], s[0:1], s13, v11, v[0:1]
	v_add_u32_e32 v6, 0x370, v52
	v_mad_u64_u32 v[9:10], s[0:1], s12, v6, 0
	v_add_co_u32_e64 v53, s[0:1], v12, v3
	v_mov_b32_e32 v0, v10
	v_addc_co_u32_e64 v54, s[0:1], v13, v4, s[0:1]
	v_lshlrev_b64 v[3:4], 3, v[7:8]
	v_mad_u64_u32 v[6:7], s[0:1], s13, v6, v[0:1]
	v_add_u32_e32 v11, 0x3c0, v52
	v_mad_u64_u32 v[7:8], s[0:1], s12, v11, 0
	v_add_co_u32_e64 v55, s[0:1], v12, v3
	v_mov_b32_e32 v10, v6
	v_mov_b32_e32 v0, v8
	v_addc_co_u32_e64 v56, s[0:1], v13, v4, s[0:1]
	v_lshlrev_b64 v[3:4], 3, v[9:10]
	v_mad_u64_u32 v[8:9], s[0:1], s13, v11, v[0:1]
	v_add_u32_e32 v6, 0x410, v52
	v_mad_u64_u32 v[9:10], s[0:1], s12, v6, 0
	v_add_co_u32_e64 v57, s[0:1], v12, v3
	v_mov_b32_e32 v0, v10
	v_addc_co_u32_e64 v58, s[0:1], v13, v4, s[0:1]
	v_lshlrev_b64 v[3:4], 3, v[7:8]
	v_mad_u64_u32 v[6:7], s[0:1], s13, v6, v[0:1]
	v_add_u32_e32 v11, 0x460, v52
	v_mad_u64_u32 v[7:8], s[0:1], s12, v11, 0
	v_add_co_u32_e64 v59, s[0:1], v12, v3
	v_mov_b32_e32 v10, v6
	v_mov_b32_e32 v0, v8
	v_addc_co_u32_e64 v60, s[0:1], v13, v4, s[0:1]
	v_lshlrev_b64 v[3:4], 3, v[9:10]
	v_mad_u64_u32 v[8:9], s[0:1], s13, v11, v[0:1]
	v_add_u32_e32 v6, 0x4b0, v52
	v_mad_u64_u32 v[9:10], s[0:1], s12, v6, 0
	v_add_co_u32_e64 v61, s[0:1], v12, v3
	v_mov_b32_e32 v0, v10
	v_addc_co_u32_e64 v62, s[0:1], v13, v4, s[0:1]
	v_lshlrev_b64 v[3:4], 3, v[7:8]
	v_mad_u64_u32 v[6:7], s[0:1], s13, v6, v[0:1]
	v_or_b32_e32 v11, 0x500, v52
	v_mad_u64_u32 v[7:8], s[0:1], s12, v11, 0
	v_add_co_u32_e64 v63, s[0:1], v12, v3
	v_mov_b32_e32 v10, v6
	v_mov_b32_e32 v0, v8
	v_addc_co_u32_e64 v64, s[0:1], v13, v4, s[0:1]
	v_lshlrev_b64 v[3:4], 3, v[9:10]
	v_mad_u64_u32 v[8:9], s[0:1], s13, v11, v[0:1]
	v_add_co_u32_e64 v65, s[0:1], v12, v3
	v_addc_co_u32_e64 v66, s[0:1], v13, v4, s[0:1]
	v_lshlrev_b64 v[3:4], 3, v[7:8]
	v_add_co_u32_e64 v67, s[0:1], v12, v3
	v_addc_co_u32_e64 v68, s[0:1], v13, v4, s[0:1]
	global_load_dwordx2 v[3:4], v[28:29], off
	global_load_dwordx2 v[18:19], v[34:35], off
	;; [unrolled: 1-line block ×15, first 2 shown]
                                        ; kill: killed $vgpr61 killed $vgpr62
                                        ; kill: killed $vgpr50 killed $vgpr51
                                        ; kill: killed $vgpr40 killed $vgpr41
                                        ; kill: killed $vgpr55 killed $vgpr56
                                        ; kill: killed $vgpr44 killed $vgpr45
                                        ; kill: killed $vgpr28 killed $vgpr29
                                        ; kill: killed $vgpr59 killed $vgpr60
                                        ; kill: killed $vgpr48 killed $vgpr49
                                        ; kill: killed $vgpr38 killed $vgpr39
                                        ; kill: killed $vgpr63 killed $vgpr64
                                        ; kill: killed $vgpr53 killed $vgpr54
                                        ; kill: killed $vgpr42 killed $vgpr43
                                        ; kill: killed $vgpr57 killed $vgpr58
                                        ; kill: killed $vgpr46 killed $vgpr47
                                        ; kill: killed $vgpr34 killed $vgpr35
	global_load_dwordx2 v[28:29], v[65:66], off
	global_load_dwordx2 v[34:35], v[67:68], off
.LBB0_11:
	s_or_b64 exec, exec, s[4:5]
	v_mov_b32_e32 v0, v52
.LBB0_12:
	s_or_b64 exec, exec, s[2:3]
	s_mov_b32 s0, 0xaaaaaaab
	v_mul_hi_u32 v40, v5, s0
	s_waitcnt vmcnt(0)
	v_add_f32_e32 v51, v18, v34
	v_mul_f32_e32 v38, 0x3f6eb680, v51
	v_sub_f32_e32 v39, v19, v35
	v_lshrrev_b32_e32 v40, 1, v40
	v_lshl_add_u32 v40, v40, 1, v40
	v_sub_u32_e32 v53, v5, v40
	v_mov_b32_e32 v5, v38
	v_fmac_f32_e32 v5, 0xbeb8f4ab, v39
	v_add_f32_e32 v61, v20, v28
	v_add_f32_e32 v40, v3, v5
	v_mul_f32_e32 v5, 0x3f3d2fb0, v61
	v_sub_f32_e32 v42, v21, v29
	v_mov_b32_e32 v41, v5
	v_fmac_f32_e32 v41, 0xbf2c7751, v42
	v_mul_f32_e32 v45, 0x3f3d2fb0, v51
	v_add_f32_e32 v41, v40, v41
	v_mov_b32_e32 v40, v45
	v_mul_f32_e32 v46, 0x3dbcf732, v61
	v_fmac_f32_e32 v40, 0xbf2c7751, v39
	v_mov_b32_e32 v43, v46
	v_add_f32_e32 v40, v3, v40
	v_fmac_f32_e32 v43, 0xbf7ee86f, v42
	v_add_f32_e32 v65, v22, v16
	v_add_f32_e32 v43, v40, v43
	v_mul_f32_e32 v40, 0x3ee437d1, v65
	v_sub_f32_e32 v44, v23, v17
	v_mov_b32_e32 v47, v40
	v_fmac_f32_e32 v47, 0xbf65296c, v44
	v_mul_f32_e32 v49, 0xbf1a4643, v65
	v_add_f32_e32 v47, v47, v41
	v_mov_b32_e32 v41, v49
	v_fmac_f32_e32 v41, 0xbf4c4adb, v44
	v_add_f32_e32 v68, v24, v14
	v_add_f32_e32 v43, v41, v43
	v_mul_f32_e32 v41, 0x3dbcf732, v68
	v_sub_f32_e32 v48, v25, v15
	v_mov_b32_e32 v50, v41
	v_fmac_f32_e32 v50, 0xbf7ee86f, v48
	v_mul_f32_e32 v55, 0xbf7ba420, v68
	v_add_f32_e32 v47, v50, v47
	v_mov_b32_e32 v50, v55
	;; [unrolled: 10-line block ×6, first 2 shown]
	v_fmac_f32_e32 v54, 0x3eb8f4ab, v66
	v_mul_u32_u24_e32 v53, 0x550, v53
	s_movk_i32 s0, 0x50
	v_add_f32_e32 v54, v54, v73
	s_mov_b32 s6, 0x3f6eb680
	s_mov_b32 s7, 0x3f3d2fb0
	;; [unrolled: 1-line block ×8, first 2 shown]
	v_cmp_gt_u32_e64 s[2:3], s0, v52
	v_lshlrev_b32_e32 v53, 2, v53
	s_and_saveexec_b64 s[0:1], s[2:3]
	s_cbranch_execz .LBB0_14
; %bb.13:
	v_mul_f32_e32 v73, 0xbe3c28d5, v39
	v_mov_b32_e32 v74, v73
	v_mul_f32_e32 v75, 0x3eb8f4ab, v42
	v_fmac_f32_e32 v74, 0xbf7ba420, v51
	v_mov_b32_e32 v76, v75
	v_add_f32_e32 v74, v3, v74
	v_fmac_f32_e32 v76, 0x3f6eb680, v61
	v_add_f32_e32 v74, v74, v76
	v_mul_f32_e32 v76, 0xbf06c442, v44
	v_mov_b32_e32 v77, v76
	v_fmac_f32_e32 v77, 0xbf59a7d5, v65
	v_add_f32_e32 v74, v77, v74
	v_mul_f32_e32 v77, 0x3f2c7751, v48
	v_mov_b32_e32 v78, v77
	v_fmac_f32_e32 v78, 0x3f3d2fb0, v68
	v_add_f32_e32 v74, v78, v74
	v_mul_f32_e32 v78, 0xbf4c4adb, v56
	v_mov_b32_e32 v79, v78
	v_fmac_f32_e32 v79, 0xbf1a4643, v69
	v_add_f32_e32 v74, v79, v74
	v_mul_f32_e32 v79, 0x3f65296c, v62
	v_fma_f32 v73, v51, s11, -v73
	v_mov_b32_e32 v80, v79
	v_add_f32_e32 v73, v3, v73
	v_fma_f32 v75, v61, s6, -v75
	v_fmac_f32_e32 v80, 0x3ee437d1, v70
	v_add_f32_e32 v73, v73, v75
	v_fma_f32 v75, v65, s4, -v76
	v_add_f32_e32 v74, v80, v74
	v_mul_f32_e32 v80, 0xbf763a35, v64
	v_add_f32_e32 v73, v75, v73
	v_fma_f32 v75, v68, s7, -v77
	v_mov_b32_e32 v81, v80
	v_add_f32_e32 v73, v75, v73
	v_fma_f32 v75, v69, s16, -v78
	v_fmac_f32_e32 v81, 0xbe8c1d8e, v71
	v_add_f32_e32 v73, v75, v73
	v_fma_f32 v75, v70, s17, -v79
	v_add_f32_e32 v74, v81, v74
	v_mul_f32_e32 v81, 0x3f7ee86f, v66
	v_add_f32_e32 v73, v75, v73
	v_fma_f32 v75, v71, s10, -v80
	v_add_f32_e32 v73, v75, v73
	v_fma_f32 v75, v72, s5, -v81
	v_add_f32_e32 v73, v75, v73
	v_mul_f32_e32 v75, 0xbf06c442, v39
	v_mov_b32_e32 v76, v75
	v_mul_f32_e32 v77, 0x3f65296c, v42
	v_fmac_f32_e32 v76, 0xbf59a7d5, v51
	v_mov_b32_e32 v78, v77
	v_add_f32_e32 v76, v3, v76
	v_fmac_f32_e32 v78, 0x3ee437d1, v61
	v_add_f32_e32 v76, v76, v78
	v_mul_f32_e32 v78, 0xbf7ee86f, v44
	v_mov_b32_e32 v79, v78
	v_fmac_f32_e32 v79, 0x3dbcf732, v65
	v_add_f32_e32 v76, v79, v76
	v_mul_f32_e32 v79, 0x3f4c4adb, v48
	v_mov_b32_e32 v80, v79
	v_fmac_f32_e32 v80, 0xbf1a4643, v68
	v_add_f32_e32 v76, v80, v76
	v_mul_f32_e32 v80, 0xbeb8f4ab, v56
	v_mov_b32_e32 v82, v81
	v_mov_b32_e32 v81, v80
	v_fmac_f32_e32 v81, 0x3f6eb680, v69
	v_fmac_f32_e32 v82, 0x3dbcf732, v72
	v_add_f32_e32 v76, v81, v76
	v_mul_f32_e32 v81, 0xbe3c28d5, v62
	v_fma_f32 v75, v51, s4, -v75
	v_add_f32_e32 v74, v82, v74
	v_mov_b32_e32 v82, v81
	v_add_f32_e32 v75, v3, v75
	v_fma_f32 v77, v61, s17, -v77
	v_fmac_f32_e32 v82, 0xbf7ba420, v70
	v_add_f32_e32 v75, v75, v77
	v_fma_f32 v77, v65, s5, -v78
	v_add_f32_e32 v76, v82, v76
	v_mul_f32_e32 v82, 0x3f2c7751, v64
	v_add_f32_e32 v75, v77, v75
	v_fma_f32 v77, v68, s16, -v79
	v_mov_b32_e32 v83, v82
	v_add_f32_e32 v75, v77, v75
	v_fma_f32 v77, v69, s6, -v80
	v_fmac_f32_e32 v83, 0x3f3d2fb0, v71
	v_add_f32_e32 v75, v77, v75
	v_fma_f32 v77, v70, s11, -v81
	v_add_f32_e32 v76, v83, v76
	v_mul_f32_e32 v83, 0xbf763a35, v66
	v_add_f32_e32 v75, v77, v75
	v_fma_f32 v77, v71, s7, -v82
	v_add_f32_e32 v75, v77, v75
	v_fma_f32 v77, v72, s10, -v83
	v_add_f32_e32 v75, v77, v75
	v_mul_f32_e32 v77, 0xbf4c4adb, v39
	v_mov_b32_e32 v78, v77
	v_mul_f32_e32 v79, 0x3f763a35, v42
	v_fmac_f32_e32 v78, 0xbf1a4643, v51
	v_mov_b32_e32 v80, v79
	v_add_f32_e32 v78, v3, v78
	v_fmac_f32_e32 v80, 0xbe8c1d8e, v61
	v_add_f32_e32 v78, v78, v80
	v_mul_f32_e32 v80, 0xbeb8f4ab, v44
	v_mov_b32_e32 v81, v80
	v_fmac_f32_e32 v81, 0x3f6eb680, v65
	v_add_f32_e32 v78, v81, v78
	v_mul_f32_e32 v81, 0xbf06c442, v48
	v_mov_b32_e32 v82, v81
	v_fmac_f32_e32 v82, 0xbf59a7d5, v68
	v_add_f32_e32 v78, v82, v78
	v_mul_f32_e32 v82, 0x3f7ee86f, v56
	v_mov_b32_e32 v84, v83
	v_mov_b32_e32 v83, v82
	v_fmac_f32_e32 v83, 0x3dbcf732, v69
	v_fmac_f32_e32 v84, 0xbe8c1d8e, v72
	v_add_f32_e32 v78, v83, v78
	v_mul_f32_e32 v83, 0xbf2c7751, v62
	v_fma_f32 v77, v51, s16, -v77
	v_add_f32_e32 v76, v84, v76
	;; [unrolled: 48-line block ×5, first 2 shown]
	v_mov_b32_e32 v90, v89
	v_fma_f32 v61, v61, s16, -v85
	v_add_f32_e32 v51, v3, v51
	v_fmac_f32_e32 v90, 0x3f6eb680, v70
	v_add_f32_e32 v51, v51, v61
	v_fma_f32 v61, v65, s11, -v86
	v_add_f32_e32 v84, v90, v84
	v_mul_f32_e32 v90, 0xbf7ee86f, v64
	v_add_f32_e32 v51, v61, v51
	v_fma_f32 v61, v68, s10, -v87
	v_mov_b32_e32 v91, v90
	v_add_f32_e32 v51, v61, v51
	v_fma_f32 v61, v69, s7, -v88
	v_fmac_f32_e32 v91, 0x3dbcf732, v71
	v_add_f32_e32 v51, v61, v51
	v_fma_f32 v61, v70, s6, -v89
	v_add_f32_e32 v84, v91, v84
	v_mul_f32_e32 v91, 0xbf06c442, v66
	v_add_f32_e32 v51, v61, v51
	v_fma_f32 v61, v71, s5, -v90
	v_add_f32_e32 v51, v61, v51
	v_fma_f32 v61, v72, s4, -v91
	v_add_f32_e32 v51, v61, v51
	v_mul_f32_e32 v61, 0xbf2c7751, v39
	v_mul_f32_e32 v39, 0xbeb8f4ab, v39
	v_sub_f32_e32 v45, v45, v61
	v_sub_f32_e32 v38, v38, v39
	v_add_f32_e32 v45, v3, v45
	v_add_f32_e32 v38, v3, v38
	;; [unrolled: 1-line block ×6, first 2 shown]
	v_mul_f32_e32 v61, 0xbf7ee86f, v42
	v_add_f32_e32 v3, v3, v26
	v_sub_f32_e32 v46, v46, v61
	v_add_f32_e32 v3, v3, v30
	v_add_f32_e32 v45, v45, v46
	v_mul_f32_e32 v46, 0xbf4c4adb, v44
	v_mul_f32_e32 v42, 0xbf2c7751, v42
	v_add_f32_e32 v3, v3, v32
	v_sub_f32_e32 v46, v49, v46
	v_mul_f32_e32 v44, 0xbf65296c, v44
	v_sub_f32_e32 v5, v5, v42
	v_add_f32_e32 v3, v3, v36
	v_add_f32_e32 v45, v46, v45
	v_mul_f32_e32 v46, 0xbf7ee86f, v48
	v_mul_f32_e32 v48, 0xbe3c28d5, v48
	v_add_f32_e32 v5, v38, v5
	v_sub_f32_e32 v38, v40, v44
	v_add_f32_e32 v3, v3, v6
	v_sub_f32_e32 v48, v55, v48
	v_mul_f32_e32 v49, 0xbf763a35, v56
	v_add_f32_e32 v5, v38, v5
	v_sub_f32_e32 v38, v41, v46
	v_add_f32_e32 v3, v3, v8
	v_mul_f32_e32 v55, 0x3f06c442, v56
	v_add_f32_e32 v45, v48, v45
	v_mul_f32_e32 v48, 0xbf4c4adb, v62
	v_add_f32_e32 v5, v38, v5
	v_sub_f32_e32 v38, v43, v49
	v_add_f32_e32 v3, v3, v10
	v_sub_f32_e32 v55, v58, v55
	v_mul_f32_e32 v58, 0xbf06c442, v64
	v_add_f32_e32 v5, v38, v5
	v_sub_f32_e32 v38, v47, v48
	v_add_f32_e32 v3, v3, v12
	v_mul_f32_e32 v56, 0x3f763a35, v62
	v_add_f32_e32 v45, v55, v45
	v_mul_f32_e32 v55, 0xbe3c28d5, v66
	v_add_f32_e32 v5, v38, v5
	v_sub_f32_e32 v38, v50, v58
	v_add_f32_e32 v3, v3, v14
	v_mul_f32_e32 v61, 0x3f65296c, v64
	v_sub_f32_e32 v56, v60, v56
	v_add_f32_e32 v5, v38, v5
	v_sub_f32_e32 v38, v59, v55
	v_add_f32_e32 v3, v3, v16
	v_mov_b32_e32 v92, v91
	v_mul_f32_e32 v62, 0x3eb8f4ab, v66
	v_add_f32_e32 v45, v56, v45
	v_sub_f32_e32 v56, v63, v61
	v_add_f32_e32 v5, v38, v5
	v_add_f32_e32 v3, v3, v28
	v_mul_u32_u24_e32 v38, 0x44, v52
	v_fmac_f32_e32 v92, 0xbf59a7d5, v72
	v_add_f32_e32 v45, v56, v45
	v_sub_f32_e32 v56, v67, v62
	v_add_f32_e32 v3, v34, v3
	v_add3_u32 v38, 0, v38, v53
	v_add_f32_e32 v84, v92, v84
	v_add_f32_e32 v45, v56, v45
	ds_write2_b32 v38, v3, v5 offset1:1
	ds_write2_b32 v38, v45, v51 offset0:2 offset1:3
	ds_write2_b32 v38, v81, v79 offset0:4 offset1:5
	;; [unrolled: 1-line block ×7, first 2 shown]
	ds_write_b32 v38, v57 offset:64
.LBB0_14:
	s_or_b64 exec, exec, s[0:1]
	v_lshlrev_b32_e32 v3, 2, v52
	v_add3_u32 v56, 0, v53, v3
	v_add_u32_e32 v3, 0, v3
	v_add_u32_e32 v55, v3, v53
	;; [unrolled: 1-line block ×3, first 2 shown]
	s_waitcnt lgkmcnt(0)
	s_barrier
	ds_read2_b32 v[48:49], v5 offset0:16 offset1:101
	v_add_u32_e32 v5, 0x600, v55
	ds_read2_b32 v[40:41], v5 offset0:58 offset1:160
	v_add_u32_e32 v5, 0xc00, v55
	;; [unrolled: 2-line block ×3, first 2 shown]
	ds_read_b32 v58, v56
	ds_read2_b32 v[42:43], v5 offset0:90 offset1:192
	ds_read2_b32 v[38:39], v55 offset0:85 offset1:170
	v_add_u32_e32 v5, 0x800, v55
	ds_read2_b32 v[46:47], v5 offset0:117 offset1:202
	v_add_u32_e32 v5, 0x1000, v55
	ds_read2_b32 v[44:45], v5 offset0:149 offset1:234
	v_cmp_gt_u32_e64 s[0:1], 17, v52
                                        ; implicit-def: $vgpr59
                                        ; implicit-def: $vgpr60
                                        ; implicit-def: $vgpr61
	s_and_saveexec_b64 s[4:5], s[0:1]
	s_cbranch_execz .LBB0_16
; %bb.15:
	ds_read_b32 v54, v55 offset:1020
	ds_read_b32 v57, v55 offset:2108
	;; [unrolled: 1-line block ×5, first 2 shown]
.LBB0_16:
	s_or_b64 exec, exec, s[4:5]
	v_sub_f32_e32 v76, v18, v34
	v_add_f32_e32 v75, v19, v35
	s_mov_b32 s17, 0x3f6eb680
	v_mul_f32_e32 v79, 0xbeb8f4ab, v76
	v_sub_f32_e32 v72, v20, v28
	v_fma_f32 v5, v75, s17, -v79
	v_mul_f32_e32 v80, 0xbf2c7751, v76
	v_add_f32_e32 v71, v21, v29
	v_mul_f32_e32 v77, 0xbf2c7751, v72
	v_sub_f32_e32 v68, v22, v16
	v_add_f32_e32 v5, v4, v5
	v_fma_f32 v18, v75, s7, -v80
	v_fma_f32 v20, v71, s7, -v77
	s_mov_b32 s6, 0x3dbcf732
	v_mul_f32_e32 v78, 0xbf7ee86f, v72
	v_add_f32_e32 v67, v23, v17
	s_mov_b32 s10, 0x3ee437d1
	v_mul_f32_e32 v73, 0xbf65296c, v68
	v_sub_f32_e32 v64, v24, v14
	v_add_f32_e32 v18, v4, v18
	v_add_f32_e32 v5, v5, v20
	v_fma_f32 v20, v71, s6, -v78
	v_fma_f32 v16, v67, s10, -v73
	s_mov_b32 s11, 0xbf1a4643
	v_mul_f32_e32 v74, 0xbf4c4adb, v68
	v_add_f32_e32 v63, v25, v15
	v_mul_f32_e32 v69, 0xbf7ee86f, v64
	v_add_f32_e32 v18, v18, v20
	v_add_f32_e32 v5, v16, v5
	v_fma_f32 v16, v67, s11, -v74
	v_fma_f32 v14, v63, s6, -v69
	s_mov_b32 s19, 0xbf7ba420
	v_mul_f32_e32 v70, 0xbe3c28d5, v64
	v_sub_f32_e32 v34, v26, v12
	v_add_f32_e32 v16, v16, v18
	v_add_f32_e32 v5, v14, v5
	v_fma_f32 v14, v63, s19, -v70
	v_add_f32_e32 v28, v27, v13
	s_mov_b32 s16, 0xbe8c1d8e
	v_mul_f32_e32 v65, 0xbf763a35, v34
	v_sub_f32_e32 v22, v30, v10
	v_add_f32_e32 v14, v14, v16
	v_fma_f32 v12, v28, s16, -v65
	s_mov_b32 s18, 0xbf59a7d5
	v_mul_f32_e32 v66, 0x3f06c442, v34
	v_add_f32_e32 v16, v31, v11
	v_mul_f32_e32 v30, 0xbf4c4adb, v22
	v_add_f32_e32 v5, v12, v5
	v_fma_f32 v12, v28, s18, -v66
	v_fma_f32 v10, v16, s11, -v30
	v_mul_f32_e32 v62, 0x3f763a35, v22
	v_add_f32_e32 v12, v12, v14
	v_add_f32_e32 v5, v10, v5
	v_fma_f32 v10, v16, s16, -v62
	v_sub_f32_e32 v8, v32, v8
	v_add_f32_e32 v12, v10, v12
	v_add_f32_e32 v10, v33, v9
	v_mul_f32_e32 v24, 0xbf06c442, v8
	v_fma_f32 v14, v10, s18, -v24
	v_mul_f32_e32 v26, 0x3f65296c, v8
	v_add_f32_e32 v14, v14, v5
	v_fma_f32 v5, v10, s10, -v26
	v_sub_f32_e32 v6, v36, v6
	v_add_f32_e32 v20, v5, v12
	v_add_f32_e32 v5, v37, v7
	v_mul_f32_e32 v12, 0xbe3c28d5, v6
	v_fma_f32 v18, v5, s19, -v12
	v_add_f32_e32 v18, v18, v14
	v_mul_f32_e32 v14, 0x3eb8f4ab, v6
	v_fma_f32 v32, v5, s17, -v14
	v_add_f32_e32 v20, v32, v20
	s_waitcnt lgkmcnt(0)
	s_barrier
	s_and_saveexec_b64 s[4:5], s[2:3]
	s_cbranch_execz .LBB0_18
; %bb.17:
	v_add_f32_e32 v19, v4, v19
	v_add_f32_e32 v19, v19, v21
	;; [unrolled: 1-line block ×12, first 2 shown]
	v_mul_f32_e32 v32, 0x3f6eb680, v75
	v_add_f32_e32 v7, v7, v15
	v_add_f32_e32 v7, v7, v17
	;; [unrolled: 1-line block ×3, first 2 shown]
	v_mul_f32_e32 v32, 0xbe3c28d5, v76
	v_mul_f32_e32 v36, 0x3f3d2fb0, v75
	v_add_f32_e32 v7, v7, v29
	v_mul_f32_e32 v13, 0xbf65296c, v76
	v_mul_f32_e32 v17, 0xbf7ee86f, v76
	;; [unrolled: 1-line block ×5, first 2 shown]
	v_mov_b32_e32 v33, v32
	v_mul_f32_e32 v81, 0x3f3d2fb0, v71
	v_add_f32_e32 v11, v36, v80
	v_fma_f32 v15, v75, s10, -v13
	v_fmac_f32_e32 v13, 0x3ee437d1, v75
	v_fma_f32 v19, v75, s6, -v17
	v_fmac_f32_e32 v17, 0x3dbcf732, v75
	;; [unrolled: 2-line block ×5, first 2 shown]
	v_fmac_f32_e32 v33, 0xbf7ba420, v75
	v_fma_f32 v32, v75, s19, -v32
	v_mul_f32_e32 v82, 0x3dbcf732, v71
	v_add_f32_e32 v9, v4, v9
	v_add_f32_e32 v11, v4, v11
	;; [unrolled: 1-line block ×18, first 2 shown]
	v_mul_f32_e32 v32, 0xbf4c4adb, v72
	v_add_f32_e32 v7, v35, v7
	v_fma_f32 v35, v71, s11, -v32
	v_fmac_f32_e32 v32, 0xbf1a4643, v71
	v_add_f32_e32 v13, v13, v32
	v_mul_f32_e32 v32, 0xbe3c28d5, v72
	v_add_f32_e32 v15, v15, v35
	v_fma_f32 v35, v71, s19, -v32
	v_fmac_f32_e32 v32, 0xbf7ba420, v71
	v_add_f32_e32 v17, v17, v32
	v_mul_f32_e32 v32, 0x3f06c442, v72
	v_add_f32_e32 v19, v19, v35
	v_fma_f32 v35, v71, s18, -v32
	v_fmac_f32_e32 v32, 0xbf59a7d5, v71
	v_add_f32_e32 v21, v21, v32
	v_mul_f32_e32 v32, 0x3f763a35, v72
	v_add_f32_e32 v23, v23, v35
	v_fma_f32 v35, v71, s16, -v32
	v_fmac_f32_e32 v32, 0xbe8c1d8e, v71
	v_add_f32_e32 v25, v25, v32
	v_mul_f32_e32 v32, 0x3f65296c, v72
	v_add_f32_e32 v27, v27, v35
	v_fma_f32 v35, v71, s10, -v32
	v_fmac_f32_e32 v32, 0x3ee437d1, v71
	v_add_f32_e32 v29, v29, v32
	v_mul_f32_e32 v32, 0x3eb8f4ab, v72
	v_mul_f32_e32 v83, 0x3ee437d1, v67
	v_add_f32_e32 v31, v31, v35
	v_mov_b32_e32 v35, v32
	v_fma_f32 v32, v71, s17, -v32
	v_mul_f32_e32 v84, 0xbf1a4643, v67
	v_add_f32_e32 v4, v4, v32
	v_add_f32_e32 v32, v83, v73
	v_add_f32_e32 v9, v32, v9
	v_add_f32_e32 v32, v84, v74
	v_fmac_f32_e32 v35, 0x3f6eb680, v71
	v_add_f32_e32 v11, v32, v11
	v_mul_f32_e32 v32, 0x3e3c28d5, v68
	v_add_f32_e32 v33, v33, v35
	v_fma_f32 v35, v67, s19, -v32
	v_fmac_f32_e32 v32, 0xbf7ba420, v67
	v_add_f32_e32 v13, v32, v13
	v_mul_f32_e32 v32, 0x3f763a35, v68
	v_add_f32_e32 v15, v35, v15
	v_fma_f32 v35, v67, s16, -v32
	v_fmac_f32_e32 v32, 0xbe8c1d8e, v67
	v_add_f32_e32 v17, v32, v17
	v_mul_f32_e32 v32, 0x3f2c7751, v68
	v_add_f32_e32 v19, v35, v19
	v_fma_f32 v35, v67, s7, -v32
	v_fmac_f32_e32 v32, 0x3f3d2fb0, v67
	v_add_f32_e32 v21, v32, v21
	v_mul_f32_e32 v32, 0xbeb8f4ab, v68
	v_add_f32_e32 v23, v35, v23
	v_fma_f32 v35, v67, s17, -v32
	v_fmac_f32_e32 v32, 0x3f6eb680, v67
	v_add_f32_e32 v25, v32, v25
	v_mul_f32_e32 v32, 0xbf7ee86f, v68
	v_add_f32_e32 v27, v35, v27
	v_fma_f32 v35, v67, s6, -v32
	v_fmac_f32_e32 v32, 0x3dbcf732, v67
	v_add_f32_e32 v29, v32, v29
	v_mul_f32_e32 v32, 0xbf06c442, v68
	v_mul_f32_e32 v85, 0x3dbcf732, v63
	v_add_f32_e32 v31, v35, v31
	v_mov_b32_e32 v35, v32
	v_fma_f32 v32, v67, s18, -v32
	v_mul_f32_e32 v86, 0xbf7ba420, v63
	v_add_f32_e32 v4, v32, v4
	v_add_f32_e32 v32, v85, v69
	v_add_f32_e32 v9, v32, v9
	v_add_f32_e32 v32, v86, v70
	v_fmac_f32_e32 v35, 0xbf59a7d5, v67
	v_add_f32_e32 v11, v32, v11
	;; [unrolled: 37-line block ×3, first 2 shown]
	v_mul_f32_e32 v32, 0x3f2c7751, v34
	v_add_f32_e32 v33, v35, v33
	v_fma_f32 v35, v28, s7, -v32
	v_fmac_f32_e32 v32, 0x3f3d2fb0, v28
	v_add_f32_e32 v13, v32, v13
	v_mul_f32_e32 v32, 0xbf65296c, v34
	v_add_f32_e32 v15, v35, v15
	v_fma_f32 v35, v28, s10, -v32
	v_fmac_f32_e32 v32, 0x3ee437d1, v28
	v_add_f32_e32 v17, v32, v17
	;; [unrolled: 5-line block ×5, first 2 shown]
	v_mul_f32_e32 v32, 0xbf4c4adb, v34
	v_mov_b32_e32 v34, v32
	v_mul_f32_e32 v89, 0xbf1a4643, v16
	v_fmac_f32_e32 v34, 0xbf1a4643, v28
	v_fma_f32 v28, v28, s11, -v32
	v_mul_f32_e32 v90, 0xbe8c1d8e, v16
	v_add_f32_e32 v4, v28, v4
	v_add_f32_e32 v28, v89, v30
	;; [unrolled: 1-line block ×5, first 2 shown]
	v_mul_f32_e32 v28, 0xbeb8f4ab, v22
	v_fma_f32 v30, v16, s17, -v28
	v_fmac_f32_e32 v28, 0x3f6eb680, v16
	v_add_f32_e32 v13, v28, v13
	v_mul_f32_e32 v28, 0xbf06c442, v22
	v_add_f32_e32 v15, v30, v15
	v_fma_f32 v30, v16, s18, -v28
	v_fmac_f32_e32 v28, 0xbf59a7d5, v16
	v_add_f32_e32 v17, v28, v17
	v_mul_f32_e32 v28, 0x3f7ee86f, v22
	v_add_f32_e32 v19, v30, v19
	;; [unrolled: 5-line block ×4, first 2 shown]
	v_add_f32_e32 v27, v30, v27
	v_fma_f32 v30, v16, s19, -v28
	v_fmac_f32_e32 v28, 0xbf7ba420, v16
	v_mul_f32_e32 v22, 0x3f65296c, v22
	v_add_f32_e32 v28, v28, v29
	v_add_f32_e32 v29, v30, v31
	v_mov_b32_e32 v30, v22
	v_mul_f32_e32 v91, 0xbf59a7d5, v10
	v_fmac_f32_e32 v30, 0x3ee437d1, v16
	v_fma_f32 v16, v16, s10, -v22
	v_mul_f32_e32 v92, 0x3ee437d1, v10
	v_add_f32_e32 v4, v16, v4
	v_add_f32_e32 v16, v91, v24
	;; [unrolled: 1-line block ×5, first 2 shown]
	v_mul_f32_e32 v16, 0xbf7ee86f, v8
	v_fma_f32 v22, v10, s6, -v16
	v_fmac_f32_e32 v16, 0x3dbcf732, v10
	v_add_f32_e32 v13, v16, v13
	v_mul_f32_e32 v16, 0x3f4c4adb, v8
	v_add_f32_e32 v15, v22, v15
	v_fma_f32 v22, v10, s11, -v16
	v_fmac_f32_e32 v16, 0xbf1a4643, v10
	v_add_f32_e32 v16, v16, v17
	v_add_f32_e32 v17, v22, v19
	v_mul_f32_e32 v19, 0xbeb8f4ab, v8
	v_fma_f32 v22, v10, s17, -v19
	v_fmac_f32_e32 v19, 0x3f6eb680, v10
	v_add_f32_e32 v19, v19, v21
	v_add_f32_e32 v21, v22, v23
	v_mul_f32_e32 v22, 0xbe3c28d5, v8
	v_mul_f32_e32 v24, 0x3f2c7751, v8
	;; [unrolled: 1-line block ×4, first 2 shown]
	v_mov_b32_e32 v26, v8
	v_fma_f32 v8, v10, s16, -v8
	v_mul_f32_e32 v94, 0x3f6eb680, v5
	v_fma_f32 v23, v10, s19, -v22
	v_fmac_f32_e32 v22, 0xbf7ba420, v10
	v_add_f32_e32 v4, v8, v4
	v_add_f32_e32 v8, v93, v12
	;; [unrolled: 1-line block ×3, first 2 shown]
	v_fma_f32 v25, v10, s7, -v24
	v_fmac_f32_e32 v24, 0x3f3d2fb0, v10
	v_fmac_f32_e32 v26, 0xbe8c1d8e, v10
	v_add_f32_e32 v8, v8, v9
	v_add_f32_e32 v9, v94, v14
	v_mul_f32_e32 v10, 0xbf06c442, v6
	v_add_f32_e32 v9, v9, v11
	v_fma_f32 v11, v5, s18, -v10
	v_fmac_f32_e32 v10, 0xbf59a7d5, v5
	v_mul_f32_e32 v12, 0x3f2c7751, v6
	v_add_f32_e32 v10, v10, v13
	v_fma_f32 v13, v5, s7, -v12
	v_fmac_f32_e32 v12, 0x3f3d2fb0, v5
	v_mul_f32_e32 v14, 0xbf4c4adb, v6
	v_add_f32_e32 v11, v11, v15
	v_add_f32_e32 v12, v12, v16
	v_fma_f32 v15, v5, s11, -v14
	v_fmac_f32_e32 v14, 0xbf1a4643, v5
	v_mul_f32_e32 v16, 0x3f65296c, v6
	v_add_f32_e32 v13, v13, v17
	v_add_f32_e32 v14, v14, v19
	v_fma_f32 v17, v5, s10, -v16
	v_fmac_f32_e32 v16, 0x3ee437d1, v5
	v_mul_f32_e32 v19, 0xbf763a35, v6
	v_mul_f32_e32 v6, 0x3f7ee86f, v6
	v_add_f32_e32 v16, v16, v22
	v_mov_b32_e32 v22, v6
	v_add_f32_e32 v33, v34, v33
	v_add_f32_e32 v15, v15, v21
	v_fma_f32 v21, v5, s16, -v19
	v_fmac_f32_e32 v19, 0xbe8c1d8e, v5
	v_fmac_f32_e32 v22, 0x3dbcf732, v5
	v_fma_f32 v5, v5, s6, -v6
	v_add_f32_e32 v30, v30, v33
	v_add_f32_e32 v4, v5, v4
	v_lshlrev_b32_e32 v5, 6, v52
	v_add_f32_e32 v23, v23, v27
	v_add_f32_e32 v24, v24, v28
	;; [unrolled: 1-line block ×4, first 2 shown]
	v_add3_u32 v3, v3, v5, v53
	v_add_f32_e32 v17, v17, v23
	v_add_f32_e32 v19, v19, v24
	v_add_f32_e32 v21, v21, v25
	v_add_f32_e32 v22, v22, v26
	ds_write2_b32 v3, v7, v8 offset1:1
	ds_write2_b32 v3, v9, v10 offset0:2 offset1:3
	ds_write2_b32 v3, v12, v14 offset0:4 offset1:5
	;; [unrolled: 1-line block ×7, first 2 shown]
	ds_write_b32 v3, v18 offset:64
.LBB0_18:
	s_or_b64 exec, exec, s[4:5]
	v_add_u32_e32 v3, 0x400, v55
	s_waitcnt lgkmcnt(0)
	s_barrier
	ds_read2_b32 v[13:14], v3 offset0:16 offset1:101
	v_add_u32_e32 v3, 0x600, v55
	ds_read2_b32 v[5:6], v3 offset0:58 offset1:160
	v_add_u32_e32 v3, 0xc00, v55
	;; [unrolled: 2-line block ×3, first 2 shown]
	v_add_u32_e32 v9, 0x800, v55
	ds_read_b32 v19, v56
	ds_read2_b32 v[7:8], v3 offset0:90 offset1:192
	ds_read2_b32 v[3:4], v55 offset0:85 offset1:170
	;; [unrolled: 1-line block ×3, first 2 shown]
	v_add_u32_e32 v9, 0x1000, v55
	ds_read2_b32 v[9:10], v9 offset0:149 offset1:234
                                        ; implicit-def: $vgpr64
                                        ; implicit-def: $vgpr24
                                        ; implicit-def: $vgpr23
	s_and_saveexec_b64 s[2:3], s[0:1]
	s_cbranch_execz .LBB0_20
; %bb.19:
	ds_read_b32 v20, v55 offset:1020
	ds_read_b32 v18, v55 offset:2108
	;; [unrolled: 1-line block ×5, first 2 shown]
.LBB0_20:
	s_or_b64 exec, exec, s[2:3]
	s_movk_i32 s2, 0xf1
	v_mul_lo_u16_sdwa v17, v52, s2 dst_sel:DWORD dst_unused:UNUSED_PAD src0_sel:BYTE_0 src1_sel:DWORD
	v_lshrrev_b16_e32 v93, 12, v17
	v_mul_lo_u16_e32 v17, 17, v93
	v_sub_u16_e32 v17, v52, v17
	v_mov_b32_e32 v21, 5
	v_lshlrev_b32_sdwa v22, v21, v17 dst_sel:DWORD dst_unused:UNUSED_PAD src0_sel:DWORD src1_sel:BYTE_0
	global_load_dwordx4 v[25:28], v22, s[8:9] offset:16
	global_load_dwordx4 v[65:68], v22, s[8:9]
	v_add_u16_e32 v22, 0x55, v52
	v_mul_lo_u16_sdwa v29, v22, s2 dst_sel:DWORD dst_unused:UNUSED_PAD src0_sel:BYTE_0 src1_sel:DWORD
	v_lshrrev_b16_e32 v94, 12, v29
	v_mul_lo_u16_e32 v29, 17, v94
	v_sub_u16_e32 v22, v22, v29
	v_lshlrev_b32_sdwa v29, v21, v22 dst_sel:DWORD dst_unused:UNUSED_PAD src0_sel:DWORD src1_sel:BYTE_0
	global_load_dwordx4 v[69:72], v29, s[8:9] offset:16
	global_load_dwordx4 v[73:76], v29, s[8:9]
	v_add_u16_e32 v29, 0xaa, v52
	v_mul_lo_u16_sdwa v30, v29, s2 dst_sel:DWORD dst_unused:UNUSED_PAD src0_sel:BYTE_0 src1_sel:DWORD
	v_lshrrev_b16_e32 v95, 12, v30
	v_mul_lo_u16_e32 v30, 17, v95
	v_sub_u16_e32 v29, v29, v30
	v_lshlrev_b32_sdwa v21, v21, v29 dst_sel:DWORD dst_unused:UNUSED_PAD src0_sel:DWORD src1_sel:BYTE_0
	global_load_dwordx4 v[77:80], v21, s[8:9] offset:16
	global_load_dwordx4 v[81:84], v21, s[8:9]
	v_add_u32_e32 v21, 0xff, v52
	s_mov_b32 s2, 0xf0f1
	v_mul_u32_u24_sdwa v30, v21, s2 dst_sel:DWORD dst_unused:UNUSED_PAD src0_sel:WORD_0 src1_sel:DWORD
	v_lshrrev_b32_e32 v30, 20, v30
	v_mul_lo_u16_e32 v30, 17, v30
	v_sub_u16_e32 v96, v21, v30
	v_lshlrev_b32_e32 v21, 5, v96
	global_load_dwordx4 v[85:88], v21, s[8:9]
	global_load_dwordx4 v[89:92], v21, s[8:9] offset:16
	v_mov_b32_e32 v21, 2
	v_lshlrev_b32_sdwa v97, v21, v17 dst_sel:DWORD dst_unused:UNUSED_PAD src0_sel:DWORD src1_sel:BYTE_0
	v_lshlrev_b32_sdwa v98, v21, v22 dst_sel:DWORD dst_unused:UNUSED_PAD src0_sel:DWORD src1_sel:BYTE_0
	;; [unrolled: 1-line block ×3, first 2 shown]
	s_movk_i32 s2, 0x154
	s_waitcnt vmcnt(0) lgkmcnt(0)
	s_barrier
	v_mul_f32_e32 v62, v50, v26
	v_mul_f32_e32 v21, v13, v66
	;; [unrolled: 1-line block ×6, first 2 shown]
	v_fma_f32 v41, v41, v67, -v22
	v_fma_f32 v50, v50, v25, -v66
	v_mul_f32_e32 v26, v8, v28
	v_mul_f32_e32 v63, v43, v28
	;; [unrolled: 1-line block ×14, first 2 shown]
	v_fmac_f32_e32 v31, v10, v79
	v_add_f32_e32 v10, v41, v50
	v_mul_f32_e32 v29, v47, v84
	v_fmac_f32_e32 v36, v13, v65
	v_fmac_f32_e32 v63, v8, v27
	v_fma_f32 v10, -0.5, v10, v58
	v_mul_f32_e32 v68, v11, v76
	v_mul_f32_e32 v33, v46, v76
	;; [unrolled: 1-line block ×3, first 2 shown]
	v_fma_f32 v48, v48, v65, -v21
	v_fmac_f32_e32 v37, v6, v67
	v_fmac_f32_e32 v62, v15, v25
	v_fma_f32 v43, v43, v27, -v26
	v_fmac_f32_e32 v34, v16, v69
	v_fmac_f32_e32 v29, v12, v83
	v_mul_f32_e32 v21, v57, v86
	v_sub_f32_e32 v12, v36, v63
	v_mov_b32_e32 v16, v10
	v_mul_f32_e32 v80, v18, v86
	v_fmac_f32_e32 v35, v9, v71
	v_fma_f32 v6, v40, v81, -v72
	v_fma_f32 v8, v42, v77, -v82
	v_fmac_f32_e32 v21, v18, v85
	v_mul_f32_e32 v9, v23, v88
	v_fmac_f32_e32 v16, 0x3f737871, v12
	v_sub_f32_e32 v18, v37, v62
	v_sub_f32_e32 v40, v48, v41
	;; [unrolled: 1-line block ×3, first 2 shown]
	v_fmac_f32_e32 v10, 0xbf737871, v12
	v_fma_f32 v26, v61, v87, -v9
	v_mul_f32_e32 v9, v24, v90
	v_fmac_f32_e32 v16, 0x3f167918, v18
	v_add_f32_e32 v40, v40, v42
	v_fmac_f32_e32 v10, 0xbf167918, v18
	v_fma_f32 v27, v60, v89, -v9
	v_mul_f32_e32 v9, v64, v92
	v_fmac_f32_e32 v16, 0x3e9e377a, v40
	v_fmac_f32_e32 v10, 0x3e9e377a, v40
	v_add_f32_e32 v40, v48, v43
	v_fma_f32 v15, v49, v73, -v28
	v_fma_f32 v28, v59, v91, -v9
	v_add_f32_e32 v9, v58, v48
	v_fmac_f32_e32 v58, -0.5, v40
	v_fma_f32 v13, v46, v75, -v68
	v_fmac_f32_e32 v33, v11, v75
	v_fma_f32 v11, v51, v69, -v74
	v_mov_b32_e32 v42, v58
	v_fmac_f32_e32 v32, v14, v73
	v_fma_f32 v14, v44, v71, -v70
	v_fmac_f32_e32 v42, 0xbf737871, v18
	v_sub_f32_e32 v40, v41, v48
	v_sub_f32_e32 v44, v50, v43
	v_fmac_f32_e32 v58, 0x3f737871, v18
	v_add_f32_e32 v18, v13, v11
	v_fmac_f32_e32 v42, 0x3f167918, v12
	v_add_f32_e32 v40, v40, v44
	v_fmac_f32_e32 v58, 0xbf167918, v12
	v_fma_f32 v18, -0.5, v18, v38
	v_fmac_f32_e32 v42, 0x3e9e377a, v40
	v_fmac_f32_e32 v58, 0x3e9e377a, v40
	v_sub_f32_e32 v40, v32, v35
	v_mov_b32_e32 v44, v18
	v_fmac_f32_e32 v17, v5, v81
	v_fma_f32 v5, v47, v83, -v76
	v_fmac_f32_e32 v30, v7, v77
	v_fma_f32 v7, v45, v79, -v78
	v_fmac_f32_e32 v44, 0x3f737871, v40
	v_sub_f32_e32 v45, v33, v34
	v_sub_f32_e32 v46, v15, v13
	;; [unrolled: 1-line block ×3, first 2 shown]
	v_fmac_f32_e32 v18, 0xbf737871, v40
	v_fmac_f32_e32 v44, 0x3f167918, v45
	v_add_f32_e32 v46, v46, v47
	v_fmac_f32_e32 v18, 0xbf167918, v45
	v_fmac_f32_e32 v44, 0x3e9e377a, v46
	;; [unrolled: 1-line block ×3, first 2 shown]
	v_add_f32_e32 v46, v15, v14
	v_add_f32_e32 v12, v38, v15
	v_fma_f32 v38, -0.5, v46, v38
	v_mov_b32_e32 v46, v38
	v_fmac_f32_e32 v46, 0xbf737871, v45
	v_fmac_f32_e32 v38, 0x3f737871, v45
	;; [unrolled: 1-line block ×4, first 2 shown]
	v_add_f32_e32 v40, v39, v6
	v_add_f32_e32 v40, v40, v5
	v_sub_f32_e32 v47, v13, v15
	v_sub_f32_e32 v49, v11, v14
	v_add_f32_e32 v40, v40, v8
	v_add_f32_e32 v47, v47, v49
	v_add_f32_e32 v45, v40, v7
	v_add_f32_e32 v40, v5, v8
	v_mul_f32_e32 v22, v61, v88
	v_fmac_f32_e32 v46, 0x3e9e377a, v47
	v_fmac_f32_e32 v38, 0x3e9e377a, v47
	v_fma_f32 v47, -0.5, v40, v39
	v_fmac_f32_e32 v22, v23, v87
	v_mul_f32_e32 v23, v60, v90
	v_sub_f32_e32 v40, v17, v31
	v_mov_b32_e32 v49, v47
	v_fma_f32 v25, v57, v85, -v80
	v_fmac_f32_e32 v23, v24, v89
	v_mul_f32_e32 v24, v59, v92
	v_fmac_f32_e32 v49, 0x3f737871, v40
	v_sub_f32_e32 v51, v29, v30
	v_sub_f32_e32 v57, v6, v5
	;; [unrolled: 1-line block ×3, first 2 shown]
	v_fmac_f32_e32 v47, 0xbf737871, v40
	v_fmac_f32_e32 v49, 0x3f167918, v51
	v_add_f32_e32 v57, v57, v59
	v_fmac_f32_e32 v47, 0xbf167918, v51
	v_fmac_f32_e32 v49, 0x3e9e377a, v57
	;; [unrolled: 1-line block ×3, first 2 shown]
	v_add_f32_e32 v57, v6, v7
	v_fmac_f32_e32 v39, -0.5, v57
	v_mov_b32_e32 v57, v39
	v_add_f32_e32 v9, v9, v41
	v_fmac_f32_e32 v57, 0xbf737871, v51
	v_fmac_f32_e32 v39, 0x3f737871, v51
	v_add_f32_e32 v9, v9, v50
	v_fmac_f32_e32 v57, 0x3f167918, v40
	v_fmac_f32_e32 v39, 0xbf167918, v40
	v_mad_u32_u24 v40, v93, s2, 0
	v_add_f32_e32 v9, v9, v43
	v_add_f32_e32 v12, v12, v13
	v_add3_u32 v40, v40, v97, v53
	v_add_f32_e32 v12, v12, v11
	ds_write2_b32 v40, v9, v16 offset1:17
	ds_write2_b32 v40, v42, v58 offset0:34 offset1:51
	ds_write_b32 v40, v10 offset:272
	v_mad_u32_u24 v9, v94, s2, 0
	v_add_f32_e32 v12, v12, v14
	v_sub_f32_e32 v59, v5, v6
	v_sub_f32_e32 v60, v8, v7
	v_add3_u32 v42, v9, v98, v53
	v_mad_u32_u24 v9, v95, s2, 0
	v_fmac_f32_e32 v24, v64, v91
	v_add_f32_e32 v59, v59, v60
	ds_write2_b32 v42, v12, v44 offset1:17
	ds_write2_b32 v42, v46, v38 offset0:34 offset1:51
	ds_write_b32 v42, v18 offset:272
	v_add3_u32 v44, v9, v99, v53
	v_lshlrev_b32_e32 v38, 2, v96
	v_fmac_f32_e32 v57, 0x3e9e377a, v59
	v_fmac_f32_e32 v39, 0x3e9e377a, v59
	ds_write2_b32 v44, v45, v49 offset1:17
	ds_write2_b32 v44, v57, v39 offset0:34 offset1:51
	ds_write_b32 v44, v47 offset:272
	s_and_saveexec_b64 s[2:3], s[0:1]
	s_cbranch_execz .LBB0_22
; %bb.21:
	v_sub_f32_e32 v9, v26, v25
	v_sub_f32_e32 v10, v27, v28
	v_add_f32_e32 v9, v9, v10
	v_add_f32_e32 v10, v25, v28
	v_fma_f32 v10, -0.5, v10, v54
	v_sub_f32_e32 v12, v22, v23
	v_mov_b32_e32 v16, v10
	v_fmac_f32_e32 v16, 0x3f737871, v12
	v_sub_f32_e32 v18, v21, v24
	v_fmac_f32_e32 v10, 0xbf737871, v12
	v_fmac_f32_e32 v16, 0xbf167918, v18
	;; [unrolled: 1-line block ×5, first 2 shown]
	v_sub_f32_e32 v9, v25, v26
	v_sub_f32_e32 v39, v28, v27
	v_add_f32_e32 v9, v9, v39
	v_add_f32_e32 v39, v26, v27
	v_fma_f32 v39, -0.5, v39, v54
	v_mov_b32_e32 v45, v39
	v_fmac_f32_e32 v45, 0xbf737871, v18
	v_fmac_f32_e32 v39, 0x3f737871, v18
	;; [unrolled: 1-line block ×6, first 2 shown]
	v_add_f32_e32 v9, v54, v25
	v_add_f32_e32 v9, v9, v26
	;; [unrolled: 1-line block ×3, first 2 shown]
	v_add3_u32 v12, 0, v38, v53
	v_add_f32_e32 v9, v9, v28
	v_add_u32_e32 v18, 0x1200, v12
	ds_write2_b32 v18, v9, v39 offset0:123 offset1:140
	v_add_u32_e32 v9, 0x1400, v12
	ds_write2_b32 v9, v10, v16 offset0:29 offset1:46
	ds_write_b32 v12, v45 offset:5372
.LBB0_22:
	s_or_b64 exec, exec, s[2:3]
	v_add_f32_e32 v9, v19, v36
	v_add_f32_e32 v9, v9, v37
	;; [unrolled: 1-line block ×5, first 2 shown]
	v_fma_f32 v45, -0.5, v9, v19
	v_sub_f32_e32 v9, v48, v43
	v_mov_b32_e32 v43, v45
	v_fmac_f32_e32 v43, 0xbf737871, v9
	v_sub_f32_e32 v10, v41, v50
	v_sub_f32_e32 v12, v36, v37
	;; [unrolled: 1-line block ×3, first 2 shown]
	v_fmac_f32_e32 v45, 0x3f737871, v9
	v_fmac_f32_e32 v43, 0xbf167918, v10
	v_add_f32_e32 v12, v12, v16
	v_fmac_f32_e32 v45, 0x3f167918, v10
	v_fmac_f32_e32 v43, 0x3e9e377a, v12
	;; [unrolled: 1-line block ×3, first 2 shown]
	v_add_f32_e32 v12, v36, v63
	v_fmac_f32_e32 v19, -0.5, v12
	v_mov_b32_e32 v41, v19
	v_fmac_f32_e32 v41, 0x3f737871, v10
	v_fmac_f32_e32 v19, 0xbf737871, v10
	;; [unrolled: 1-line block ×4, first 2 shown]
	v_add_f32_e32 v9, v3, v32
	v_add_f32_e32 v9, v9, v33
	v_add_f32_e32 v9, v9, v34
	v_sub_f32_e32 v12, v37, v36
	v_add_f32_e32 v36, v9, v35
	v_add_f32_e32 v9, v33, v34
	v_sub_f32_e32 v16, v62, v63
	v_fma_f32 v37, -0.5, v9, v3
	v_add_f32_e32 v12, v12, v16
	v_sub_f32_e32 v9, v15, v14
	v_mov_b32_e32 v46, v37
	v_fmac_f32_e32 v41, 0x3e9e377a, v12
	v_fmac_f32_e32 v19, 0x3e9e377a, v12
	;; [unrolled: 1-line block ×3, first 2 shown]
	v_sub_f32_e32 v10, v13, v11
	v_sub_f32_e32 v11, v32, v33
	;; [unrolled: 1-line block ×3, first 2 shown]
	v_fmac_f32_e32 v37, 0x3f737871, v9
	v_fmac_f32_e32 v46, 0xbf167918, v10
	v_add_f32_e32 v11, v11, v12
	v_fmac_f32_e32 v37, 0x3f167918, v10
	v_fmac_f32_e32 v46, 0x3e9e377a, v11
	;; [unrolled: 1-line block ×3, first 2 shown]
	v_add_f32_e32 v11, v32, v35
	v_fma_f32 v47, -0.5, v11, v3
	v_mov_b32_e32 v48, v47
	v_fmac_f32_e32 v48, 0x3f737871, v10
	v_sub_f32_e32 v3, v33, v32
	v_sub_f32_e32 v11, v34, v35
	v_fmac_f32_e32 v47, 0xbf737871, v10
	v_fmac_f32_e32 v48, 0xbf167918, v9
	v_add_f32_e32 v3, v3, v11
	v_fmac_f32_e32 v47, 0x3f167918, v9
	v_fmac_f32_e32 v48, 0x3e9e377a, v3
	v_fmac_f32_e32 v47, 0x3e9e377a, v3
	v_add_f32_e32 v3, v4, v17
	v_add_f32_e32 v3, v3, v29
	;; [unrolled: 1-line block ×5, first 2 shown]
	v_fma_f32 v33, -0.5, v3, v4
	v_sub_f32_e32 v3, v6, v7
	v_mov_b32_e32 v34, v33
	v_fmac_f32_e32 v34, 0xbf737871, v3
	v_sub_f32_e32 v5, v5, v8
	v_sub_f32_e32 v6, v17, v29
	;; [unrolled: 1-line block ×3, first 2 shown]
	v_fmac_f32_e32 v33, 0x3f737871, v3
	v_fmac_f32_e32 v34, 0xbf167918, v5
	v_add_f32_e32 v6, v6, v7
	v_fmac_f32_e32 v33, 0x3f167918, v5
	v_fmac_f32_e32 v34, 0x3e9e377a, v6
	;; [unrolled: 1-line block ×3, first 2 shown]
	v_add_f32_e32 v6, v17, v31
	v_fmac_f32_e32 v4, -0.5, v6
	v_mov_b32_e32 v35, v4
	v_fmac_f32_e32 v35, 0x3f737871, v5
	v_sub_f32_e32 v6, v29, v17
	v_sub_f32_e32 v7, v30, v31
	v_fmac_f32_e32 v4, 0xbf737871, v5
	v_fmac_f32_e32 v35, 0xbf167918, v3
	v_add_f32_e32 v6, v6, v7
	v_fmac_f32_e32 v4, 0x3f167918, v3
	v_add_u32_e32 v3, 0x200, v55
	v_fmac_f32_e32 v35, 0x3e9e377a, v6
	v_fmac_f32_e32 v4, 0x3e9e377a, v6
	s_waitcnt lgkmcnt(0)
	s_barrier
	ds_read2_b32 v[5:6], v3 offset0:127 offset1:212
	v_add_u32_e32 v3, 0x400, v55
	ds_read2_b32 v[15:16], v3 offset0:169 offset1:254
	v_add_u32_e32 v3, 0x800, v55
	;; [unrolled: 2-line block ×5, first 2 shown]
	ds_read2_b32 v[11:12], v55 offset0:85 offset1:170
	ds_read2_b32 v[17:18], v3 offset0:81 offset1:166
	ds_read_b32 v3, v56
	ds_read_b32 v29, v55 offset:5100
	s_waitcnt lgkmcnt(0)
	s_barrier
	ds_write2_b32 v40, v39, v43 offset1:17
	ds_write2_b32 v40, v41, v19 offset0:34 offset1:51
	ds_write_b32 v40, v45 offset:272
	ds_write2_b32 v42, v36, v46 offset1:17
	ds_write2_b32 v42, v48, v47 offset0:34 offset1:51
	ds_write_b32 v42, v37 offset:272
	;; [unrolled: 3-line block ×3, first 2 shown]
	s_and_saveexec_b64 s[2:3], s[0:1]
	s_cbranch_execz .LBB0_24
; %bb.23:
	v_add_f32_e32 v19, v22, v23
	v_fma_f32 v19, -0.5, v19, v20
	v_sub_f32_e32 v25, v25, v28
	v_mov_b32_e32 v28, v19
	v_fmac_f32_e32 v28, 0xbf737871, v25
	v_sub_f32_e32 v26, v26, v27
	v_sub_f32_e32 v27, v21, v22
	;; [unrolled: 1-line block ×3, first 2 shown]
	v_fmac_f32_e32 v19, 0x3f737871, v25
	v_fmac_f32_e32 v28, 0xbf167918, v26
	v_add_f32_e32 v27, v27, v30
	v_fmac_f32_e32 v19, 0x3f167918, v26
	v_fmac_f32_e32 v28, 0x3e9e377a, v27
	;; [unrolled: 1-line block ×3, first 2 shown]
	v_add_f32_e32 v27, v21, v24
	v_add_f32_e32 v4, v20, v21
	v_fmac_f32_e32 v20, -0.5, v27
	v_mov_b32_e32 v27, v20
	v_add_f32_e32 v4, v4, v22
	v_fmac_f32_e32 v27, 0x3f737871, v26
	v_sub_f32_e32 v21, v22, v21
	v_sub_f32_e32 v22, v23, v24
	v_fmac_f32_e32 v20, 0xbf737871, v26
	v_fmac_f32_e32 v27, 0xbf167918, v25
	v_add_f32_e32 v21, v21, v22
	v_fmac_f32_e32 v20, 0x3f167918, v25
	v_add_f32_e32 v4, v4, v23
	v_fmac_f32_e32 v27, 0x3e9e377a, v21
	v_fmac_f32_e32 v20, 0x3e9e377a, v21
	v_add3_u32 v21, 0, v38, v53
	v_add_f32_e32 v4, v4, v24
	v_add_u32_e32 v22, 0x1200, v21
	ds_write2_b32 v22, v4, v28 offset0:123 offset1:140
	v_add_u32_e32 v4, 0x1400, v21
	ds_write2_b32 v4, v27, v20 offset0:29 offset1:46
	ds_write_b32 v21, v19 offset:5372
.LBB0_24:
	s_or_b64 exec, exec, s[2:3]
	s_waitcnt lgkmcnt(0)
	s_barrier
	s_and_saveexec_b64 s[0:1], vcc
	s_cbranch_execz .LBB0_26
; %bb.25:
	v_mul_u32_u24_e32 v4, 15, v52
	v_lshlrev_b32_e32 v4, 3, v4
	global_load_dwordx4 v[19:22], v4, s[8:9] offset:544
	global_load_dwordx4 v[23:26], v4, s[8:9] offset:608
	;; [unrolled: 1-line block ×7, first 2 shown]
	global_load_dwordx2 v[27:28], v4, s[8:9] offset:656
	ds_read2_b32 v[50:51], v55 offset0:85 offset1:170
	v_add_u32_e32 v54, 0x400, v55
	v_add_u32_e32 v57, 0x1000, v55
	;; [unrolled: 1-line block ×6, first 2 shown]
	ds_read_b32 v64, v56
	ds_read_b32 v65, v55 offset:5100
	ds_read2_b32 v[52:53], v4 offset0:125 offset1:210
	ds_read2_b32 v[54:55], v54 offset0:169 offset1:254
	;; [unrolled: 1-line block ×6, first 2 shown]
	v_lshlrev_b64 v[1:2], 3, v[1:2]
	s_waitcnt vmcnt(7) lgkmcnt(8)
	v_mul_f32_e32 v4, v51, v22
	s_waitcnt vmcnt(6) lgkmcnt(5)
	v_mul_f32_e32 v66, v53, v26
	v_mul_f32_e32 v22, v12, v22
	v_fma_f32 v12, v12, v21, -v4
	v_fma_f32 v4, v14, v25, -v66
	s_waitcnt vmcnt(3) lgkmcnt(2)
	v_mul_f32_e32 v72, v58, v39
	v_mul_f32_e32 v39, v5, v39
	s_waitcnt vmcnt(0)
	v_mul_f32_e32 v75, v29, v28
	v_mul_f32_e32 v28, v65, v28
	v_fmac_f32_e32 v75, v65, v27
	v_fma_f32 v27, v29, v27, -v28
	v_sub_f32_e32 v28, v12, v4
	v_mul_f32_e32 v4, v7, v43
	v_mul_f32_e32 v26, v14, v26
	v_fmac_f32_e32 v39, v38, v58
	s_waitcnt lgkmcnt(1)
	v_fmac_f32_e32 v4, v42, v60
	v_fmac_f32_e32 v26, v25, v53
	v_fma_f32 v25, v5, v38, -v72
	v_sub_f32_e32 v38, v39, v4
	v_mul_f32_e32 v4, v54, v31
	v_mul_f32_e32 v78, v15, v31
	v_fma_f32 v15, v15, v30, -v4
	v_mul_f32_e32 v4, v56, v35
	v_mul_f32_e32 v67, v16, v33
	;; [unrolled: 1-line block ×4, first 2 shown]
	v_fma_f32 v4, v17, v34, -v4
	v_mul_f32_e32 v79, v17, v35
	v_fmac_f32_e32 v67, v55, v32
	v_fma_f32 v14, v16, v32, -v33
	v_fma_f32 v32, v11, v19, -v76
	v_sub_f32_e32 v17, v15, v4
	v_mul_f32_e32 v11, v11, v20
	v_mul_f32_e32 v4, v13, v24
	;; [unrolled: 1-line block ×3, first 2 shown]
	v_fmac_f32_e32 v11, v19, v50
	v_fmac_f32_e32 v4, v23, v52
	v_fma_f32 v33, v13, v23, -v77
	v_sub_f32_e32 v13, v11, v4
	s_waitcnt lgkmcnt(0)
	v_mul_f32_e32 v4, v63, v49
	v_fma_f32 v4, v10, v48, -v4
	v_mul_f32_e32 v71, v10, v49
	v_sub_f32_e32 v19, v3, v4
	v_mul_f32_e32 v10, v6, v41
	v_mul_f32_e32 v4, v8, v45
	;; [unrolled: 1-line block ×5, first 2 shown]
	v_fmac_f32_e32 v71, v63, v48
	v_fmac_f32_e32 v10, v40, v59
	;; [unrolled: 1-line block ×3, first 2 shown]
	v_mul_f32_e32 v74, v9, v47
	v_fmac_f32_e32 v68, v57, v36
	v_fma_f32 v16, v18, v36, -v37
	v_fmac_f32_e32 v22, v21, v51
	v_fma_f32 v21, v8, v44, -v70
	v_sub_f32_e32 v36, v64, v71
	v_sub_f32_e32 v8, v10, v4
	v_mul_f32_e32 v69, v59, v41
	v_mul_f32_e32 v73, v60, v43
	;; [unrolled: 1-line block ×3, first 2 shown]
	v_fmac_f32_e32 v74, v62, v46
	v_fmac_f32_e32 v79, v56, v34
	v_sub_f32_e32 v33, v32, v33
	v_sub_f32_e32 v24, v19, v8
	v_fma_f32 v34, v64, 2.0, -v36
	v_fma_f32 v8, v10, 2.0, -v8
	v_fma_f32 v18, v6, v40, -v69
	v_fma_f32 v5, v7, v42, -v73
	v_fmac_f32_e32 v78, v54, v30
	v_fma_f32 v9, v9, v46, -v47
	v_sub_f32_e32 v46, v74, v75
	v_sub_f32_e32 v35, v34, v8
	v_fma_f32 v32, v32, 2.0, -v33
	v_fma_f32 v8, v15, 2.0, -v17
	v_sub_f32_e32 v21, v18, v21
	v_sub_f32_e32 v37, v25, v5
	;; [unrolled: 1-line block ×5, first 2 shown]
	v_fma_f32 v39, v39, 2.0, -v38
	v_fma_f32 v8, v74, 2.0, -v46
	v_sub_f32_e32 v16, v14, v16
	v_sub_f32_e32 v26, v22, v26
	v_add_f32_e32 v55, v21, v36
	v_sub_f32_e32 v62, v33, v47
	v_add_f32_e32 v20, v13, v17
	v_sub_f32_e32 v43, v39, v8
	v_fma_f32 v17, v25, 2.0, -v37
	v_fma_f32 v8, v9, 2.0, -v27
	v_sub_f32_e32 v29, v67, v68
	v_add_f32_e32 v53, v26, v16
	v_sub_f32_e32 v57, v37, v46
	v_mov_b32_e32 v65, v55
	v_mov_b32_e32 v66, v62
	v_add_f32_e32 v42, v38, v27
	v_sub_f32_e32 v25, v17, v8
	v_fma_f32 v27, v11, 2.0, -v13
	v_fma_f32 v8, v78, 2.0, -v47
	;; [unrolled: 1-line block ×3, first 2 shown]
	v_sub_f32_e32 v51, v28, v29
	v_fmac_f32_e32 v65, 0x3f3504f3, v53
	v_fmac_f32_e32 v66, 0x3f3504f3, v57
	v_mov_b32_e32 v23, v20
	v_sub_f32_e32 v45, v27, v8
	v_fma_f32 v3, v3, 2.0, -v19
	v_fma_f32 v8, v18, 2.0, -v21
	;; [unrolled: 1-line block ×4, first 2 shown]
	v_mov_b32_e32 v37, v33
	v_fma_f32 v22, v38, 2.0, -v42
	v_fma_f32 v38, v13, 2.0, -v20
	v_fmac_f32_e32 v65, 0x3f3504f3, v51
	v_fmac_f32_e32 v66, 0xbf3504f3, v42
	;; [unrolled: 1-line block ×3, first 2 shown]
	v_mov_b32_e32 v30, v24
	v_sub_f32_e32 v47, v3, v8
	v_fma_f32 v8, v67, 2.0, -v29
	v_fmac_f32_e32 v37, 0xbf3504f3, v15
	v_mov_b32_e32 v42, v38
	v_fmac_f32_e32 v23, 0x3f3504f3, v57
	v_fmac_f32_e32 v30, 0x3f3504f3, v51
	v_sub_f32_e32 v21, v18, v8
	v_fmac_f32_e32 v37, 0xbf3504f3, v22
	v_fmac_f32_e32 v42, 0xbf3504f3, v22
	v_fma_f32 v22, v55, 2.0, -v65
	v_fmac_f32_e32 v30, 0xbf3504f3, v53
	v_fma_f32 v31, v12, 2.0, -v28
	v_fma_f32 v12, v14, 2.0, -v16
	v_sub_f32_e32 v29, v47, v21
	v_fma_f32 v14, v26, 2.0, -v53
	v_fma_f32 v18, v18, 2.0, -v21
	;; [unrolled: 1-line block ×3, first 2 shown]
	v_mov_b32_e32 v21, v22
	v_mov_b32_e32 v4, v30
	v_add_f32_e32 v46, v25, v45
	v_fma_f32 v17, v17, 2.0, -v25
	v_fma_f32 v25, v62, 2.0, -v66
	v_fmac_f32_e32 v21, 0xbec3ef15, v26
	v_mov_b32_e32 v5, v65
	v_fmac_f32_e32 v4, 0x3f6c835e, v66
	v_sub_f32_e32 v16, v31, v12
	v_fmac_f32_e32 v21, 0x3f6c835e, v25
	v_fmac_f32_e32 v5, 0x3f6c835e, v23
	;; [unrolled: 1-line block ×3, first 2 shown]
	v_add_f32_e32 v40, v16, v35
	v_fma_f32 v23, v22, 2.0, -v21
	v_fma_f32 v22, v24, 2.0, -v30
	v_sub_f32_e32 v44, v41, v43
	v_mov_b32_e32 v8, v29
	v_fma_f32 v48, v19, 2.0, -v24
	v_mov_b32_e32 v20, v22
	v_fma_f32 v24, v35, 2.0, -v40
	v_fma_f32 v6, v30, 2.0, -v4
	v_fmac_f32_e32 v8, 0x3f3504f3, v44
	v_fmac_f32_e32 v20, 0xbec3ef15, v25
	v_fma_f32 v30, v45, 2.0, -v46
	v_mov_b32_e32 v25, v24
	v_fmac_f32_e32 v8, 0xbf3504f3, v46
	v_fma_f32 v12, v28, 2.0, -v51
	v_fma_f32 v28, v36, 2.0, -v55
	v_fmac_f32_e32 v20, 0xbf6c835e, v26
	v_fma_f32 v26, v41, 2.0, -v44
	v_fmac_f32_e32 v25, 0xbf3504f3, v30
	v_fma_f32 v10, v29, 2.0, -v8
	v_mov_b32_e32 v36, v28
	v_fmac_f32_e32 v25, 0x3f3504f3, v26
	v_fma_f32 v29, v47, 2.0, -v29
	v_fmac_f32_e32 v36, 0xbf3504f3, v14
	v_fma_f32 v51, v32, 2.0, -v41
	v_fma_f32 v32, v27, 2.0, -v45
	;; [unrolled: 1-line block ×3, first 2 shown]
	v_mov_b32_e32 v24, v29
	v_fmac_f32_e32 v36, 0x3f3504f3, v12
	v_fmac_f32_e32 v24, 0xbf3504f3, v26
	;; [unrolled: 1-line block ×3, first 2 shown]
	v_mov_b32_e32 v49, v48
	v_fmac_f32_e32 v24, 0xbf3504f3, v30
	v_fma_f32 v28, v28, 2.0, -v36
	v_fmac_f32_e32 v49, 0xbf3504f3, v12
	v_fma_f32 v26, v29, 2.0, -v24
	v_fma_f32 v30, v33, 2.0, -v37
	;; [unrolled: 1-line block ×3, first 2 shown]
	v_mov_b32_e32 v29, v28
	v_fmac_f32_e32 v49, 0xbf3504f3, v14
	v_fmac_f32_e32 v29, 0xbf6c835e, v33
	v_fma_f32 v34, v34, 2.0, -v35
	v_fmac_f32_e32 v29, 0x3ec3ef15, v30
	v_fma_f32 v35, v48, 2.0, -v49
	v_fma_f32 v3, v3, 2.0, -v47
	;; [unrolled: 1-line block ×4, first 2 shown]
	v_mov_b32_e32 v28, v35
	v_sub_f32_e32 v53, v3, v16
	v_fma_f32 v16, v39, 2.0, -v43
	v_fmac_f32_e32 v28, 0xbf6c835e, v30
	v_sub_f32_e32 v39, v32, v16
	v_fmac_f32_e32 v28, 0xbec3ef15, v33
	v_fma_f32 v30, v35, 2.0, -v28
	v_fma_f32 v35, v32, 2.0, -v39
	v_mad_u64_u32 v[32:33], s[0:1], s12, v0, 0
	v_mov_b32_e32 v9, v40
	v_mov_b32_e32 v13, v36
	v_fmac_f32_e32 v9, 0x3f3504f3, v46
	v_fmac_f32_e32 v13, 0x3ec3ef15, v42
	v_sub_f32_e32 v50, v34, v18
	v_fmac_f32_e32 v9, 0x3f3504f3, v44
	v_fmac_f32_e32 v13, 0x3f6c835e, v37
	v_fma_f32 v34, v34, 2.0, -v50
	v_fma_f32 v11, v40, 2.0, -v9
	;; [unrolled: 1-line block ×3, first 2 shown]
	v_mov_b32_e32 v12, v49
	v_sub_f32_e32 v35, v34, v35
	v_fma_f32 v36, v3, 2.0, -v53
	v_mov_b32_e32 v3, v33
	v_add_u32_e32 v40, 0x55, v0
	v_fmac_f32_e32 v12, 0x3ec3ef15, v37
	v_sub_f32_e32 v16, v53, v39
	v_fma_f32 v37, v34, 2.0, -v35
	v_mad_u64_u32 v[33:34], s[0:1], s13, v0, v[3:4]
	v_mad_u64_u32 v[38:39], s[0:1], s12, v40, 0
	v_sub_f32_e32 v52, v51, v17
	v_fma_f32 v3, v51, 2.0, -v52
	v_sub_f32_e32 v34, v36, v3
	v_mov_b32_e32 v3, s15
	v_add_co_u32_e32 v41, vcc, s14, v1
	v_fmac_f32_e32 v12, 0xbf6c835e, v42
	v_addc_co_u32_e32 v42, vcc, v3, v2, vcc
	v_lshlrev_b64 v[1:2], 3, v[32:33]
	v_mov_b32_e32 v3, v39
	v_mad_u64_u32 v[32:33], s[0:1], s13, v40, v[3:4]
	v_add_co_u32_e32 v1, vcc, v41, v1
	v_fma_f32 v36, v36, 2.0, -v34
	v_addc_co_u32_e32 v2, vcc, v42, v2, vcc
	global_store_dwordx2 v[1:2], v[36:37], off
	v_add_u32_e32 v36, 0xaa, v0
	v_mov_b32_e32 v39, v32
	v_mad_u64_u32 v[32:33], s[0:1], s12, v36, 0
	v_lshlrev_b64 v[1:2], 3, v[38:39]
	v_add_u32_e32 v39, 0xff, v0
	v_mov_b32_e32 v3, v33
	v_mad_u64_u32 v[36:37], s[0:1], s13, v36, v[3:4]
	v_mad_u64_u32 v[37:38], s[0:1], s12, v39, 0
	v_add_co_u32_e32 v1, vcc, v41, v1
	v_addc_co_u32_e32 v2, vcc, v42, v2, vcc
	v_mov_b32_e32 v3, v38
	global_store_dwordx2 v[1:2], v[30:31], off
	v_mov_b32_e32 v33, v36
	v_mad_u64_u32 v[30:31], s[0:1], s13, v39, v[3:4]
	v_lshlrev_b64 v[1:2], 3, v[32:33]
	v_add_u32_e32 v33, 0x1a9, v0
	v_add_co_u32_e32 v1, vcc, v41, v1
	v_addc_co_u32_e32 v2, vcc, v42, v2, vcc
	v_mov_b32_e32 v38, v30
	v_add_u32_e32 v30, 0x154, v0
	global_store_dwordx2 v[1:2], v[26:27], off
	v_mad_u64_u32 v[26:27], s[0:1], s12, v30, 0
	v_lshlrev_b64 v[1:2], 3, v[37:38]
	v_fma_f32 v22, v22, 2.0, -v20
	v_mov_b32_e32 v3, v27
	v_mad_u64_u32 v[30:31], s[0:1], s13, v30, v[3:4]
	v_mad_u64_u32 v[31:32], s[0:1], s12, v33, 0
	v_add_co_u32_e32 v1, vcc, v41, v1
	v_addc_co_u32_e32 v2, vcc, v42, v2, vcc
	v_mov_b32_e32 v3, v32
	global_store_dwordx2 v[1:2], v[22:23], off
	v_mov_b32_e32 v27, v30
	v_mad_u64_u32 v[22:23], s[0:1], s13, v33, v[3:4]
	v_lshlrev_b64 v[1:2], 3, v[26:27]
	v_add_f32_e32 v17, v50, v52
	v_add_co_u32_e32 v1, vcc, v41, v1
	v_fma_f32 v19, v50, 2.0, -v17
	v_fma_f32 v18, v53, 2.0, -v16
	v_addc_co_u32_e32 v2, vcc, v42, v2, vcc
	v_mov_b32_e32 v32, v22
	v_add_u32_e32 v22, 0x1fe, v0
	global_store_dwordx2 v[1:2], v[18:19], off
	v_mad_u64_u32 v[18:19], s[0:1], s12, v22, 0
	v_lshlrev_b64 v[1:2], 3, v[31:32]
	v_fma_f32 v14, v49, 2.0, -v12
	v_mov_b32_e32 v3, v19
	v_mad_u64_u32 v[22:23], s[0:1], s13, v22, v[3:4]
	v_add_u32_e32 v23, 0x253, v0
	v_mad_u64_u32 v[26:27], s[0:1], s12, v23, 0
	v_add_co_u32_e32 v1, vcc, v41, v1
	v_addc_co_u32_e32 v2, vcc, v42, v2, vcc
	v_mov_b32_e32 v3, v27
	global_store_dwordx2 v[1:2], v[14:15], off
	v_mov_b32_e32 v19, v22
	v_mad_u64_u32 v[14:15], s[0:1], s13, v23, v[3:4]
	v_lshlrev_b64 v[1:2], 3, v[18:19]
	v_fmac_f32_e32 v5, 0x3ec3ef15, v66
	v_add_co_u32_e32 v1, vcc, v41, v1
	v_addc_co_u32_e32 v2, vcc, v42, v2, vcc
	v_mov_b32_e32 v27, v14
	v_add_u32_e32 v14, 0x2a8, v0
	global_store_dwordx2 v[1:2], v[10:11], off
	v_mad_u64_u32 v[10:11], s[0:1], s12, v14, 0
	v_lshlrev_b64 v[1:2], 3, v[26:27]
	v_fma_f32 v7, v65, 2.0, -v5
	v_mov_b32_e32 v3, v11
	v_mad_u64_u32 v[14:15], s[0:1], s13, v14, v[3:4]
	v_add_u32_e32 v15, 0x2fd, v0
	v_mad_u64_u32 v[18:19], s[0:1], s12, v15, 0
	v_add_co_u32_e32 v1, vcc, v41, v1
	v_addc_co_u32_e32 v2, vcc, v42, v2, vcc
	v_mov_b32_e32 v3, v19
	global_store_dwordx2 v[1:2], v[6:7], off
	v_mad_u64_u32 v[6:7], s[0:1], s13, v15, v[3:4]
	v_mov_b32_e32 v11, v14
	v_lshlrev_b64 v[1:2], 3, v[10:11]
	v_add_u32_e32 v10, 0x352, v0
	v_mov_b32_e32 v19, v6
	v_mad_u64_u32 v[6:7], s[0:1], s12, v10, 0
	v_add_co_u32_e32 v1, vcc, v41, v1
	v_mov_b32_e32 v3, v7
	v_mad_u64_u32 v[10:11], s[0:1], s13, v10, v[3:4]
	v_add_u32_e32 v11, 0x3a7, v0
	v_addc_co_u32_e32 v2, vcc, v42, v2, vcc
	v_mad_u64_u32 v[14:15], s[0:1], s12, v11, 0
	global_store_dwordx2 v[1:2], v[34:35], off
	v_lshlrev_b64 v[1:2], 3, v[18:19]
	v_mov_b32_e32 v7, v10
	v_add_co_u32_e32 v1, vcc, v41, v1
	v_addc_co_u32_e32 v2, vcc, v42, v2, vcc
	v_mov_b32_e32 v3, v15
	global_store_dwordx2 v[1:2], v[28:29], off
	v_lshlrev_b64 v[1:2], 3, v[6:7]
	v_mad_u64_u32 v[6:7], s[0:1], s13, v11, v[3:4]
	v_add_u32_e32 v10, 0x3fc, v0
	v_add_co_u32_e32 v1, vcc, v41, v1
	v_mov_b32_e32 v15, v6
	v_mad_u64_u32 v[6:7], s[0:1], s12, v10, 0
	v_addc_co_u32_e32 v2, vcc, v42, v2, vcc
	v_mov_b32_e32 v3, v7
	v_mad_u64_u32 v[10:11], s[0:1], s13, v10, v[3:4]
	v_add_u32_e32 v11, 0x451, v0
	global_store_dwordx2 v[1:2], v[24:25], off
	v_lshlrev_b64 v[1:2], 3, v[14:15]
	v_mad_u64_u32 v[14:15], s[0:1], s12, v11, 0
	v_add_co_u32_e32 v1, vcc, v41, v1
	v_addc_co_u32_e32 v2, vcc, v42, v2, vcc
	v_mov_b32_e32 v7, v10
	v_mov_b32_e32 v3, v15
	global_store_dwordx2 v[1:2], v[20:21], off
	v_lshlrev_b64 v[1:2], 3, v[6:7]
	v_mad_u64_u32 v[6:7], s[0:1], s13, v11, v[3:4]
	v_add_u32_e32 v10, 0x4a6, v0
	v_add_co_u32_e32 v1, vcc, v41, v1
	v_mov_b32_e32 v15, v6
	v_mad_u64_u32 v[6:7], s[0:1], s12, v10, 0
	v_addc_co_u32_e32 v2, vcc, v42, v2, vcc
	v_mov_b32_e32 v3, v7
	v_mad_u64_u32 v[10:11], s[0:1], s13, v10, v[3:4]
	v_add_u32_e32 v3, 0x4fb, v0
	global_store_dwordx2 v[1:2], v[16:17], off
	v_lshlrev_b64 v[1:2], 3, v[14:15]
	v_mad_u64_u32 v[14:15], s[0:1], s12, v3, 0
	v_add_co_u32_e32 v1, vcc, v41, v1
	v_addc_co_u32_e32 v2, vcc, v42, v2, vcc
	global_store_dwordx2 v[1:2], v[12:13], off
	v_mov_b32_e32 v2, v15
	v_mov_b32_e32 v7, v10
	v_mad_u64_u32 v[2:3], s[0:1], s13, v3, v[2:3]
	v_lshlrev_b64 v[0:1], 3, v[6:7]
	v_add_co_u32_e32 v0, vcc, v41, v0
	v_addc_co_u32_e32 v1, vcc, v42, v1, vcc
	v_mov_b32_e32 v15, v2
	global_store_dwordx2 v[0:1], v[8:9], off
	v_lshlrev_b64 v[0:1], 3, v[14:15]
	v_add_co_u32_e32 v0, vcc, v41, v0
	v_addc_co_u32_e32 v1, vcc, v42, v1, vcc
	global_store_dwordx2 v[0:1], v[4:5], off
.LBB0_26:
	s_endpgm
	.section	.rodata,"a",@progbits
	.p2align	6, 0x0
	.amdhsa_kernel fft_rtc_fwd_len1360_factors_17_5_16_wgs_255_tpt_85_halfLds_sp_ip_CI_sbrr_dirReg
		.amdhsa_group_segment_fixed_size 0
		.amdhsa_private_segment_fixed_size 0
		.amdhsa_kernarg_size 88
		.amdhsa_user_sgpr_count 6
		.amdhsa_user_sgpr_private_segment_buffer 1
		.amdhsa_user_sgpr_dispatch_ptr 0
		.amdhsa_user_sgpr_queue_ptr 0
		.amdhsa_user_sgpr_kernarg_segment_ptr 1
		.amdhsa_user_sgpr_dispatch_id 0
		.amdhsa_user_sgpr_flat_scratch_init 0
		.amdhsa_user_sgpr_private_segment_size 0
		.amdhsa_uses_dynamic_stack 0
		.amdhsa_system_sgpr_private_segment_wavefront_offset 0
		.amdhsa_system_sgpr_workgroup_id_x 1
		.amdhsa_system_sgpr_workgroup_id_y 0
		.amdhsa_system_sgpr_workgroup_id_z 0
		.amdhsa_system_sgpr_workgroup_info 0
		.amdhsa_system_vgpr_workitem_id 0
		.amdhsa_next_free_vgpr 100
		.amdhsa_next_free_sgpr 24
		.amdhsa_reserve_vcc 1
		.amdhsa_reserve_flat_scratch 0
		.amdhsa_float_round_mode_32 0
		.amdhsa_float_round_mode_16_64 0
		.amdhsa_float_denorm_mode_32 3
		.amdhsa_float_denorm_mode_16_64 3
		.amdhsa_dx10_clamp 1
		.amdhsa_ieee_mode 1
		.amdhsa_fp16_overflow 0
		.amdhsa_exception_fp_ieee_invalid_op 0
		.amdhsa_exception_fp_denorm_src 0
		.amdhsa_exception_fp_ieee_div_zero 0
		.amdhsa_exception_fp_ieee_overflow 0
		.amdhsa_exception_fp_ieee_underflow 0
		.amdhsa_exception_fp_ieee_inexact 0
		.amdhsa_exception_int_div_zero 0
	.end_amdhsa_kernel
	.text
.Lfunc_end0:
	.size	fft_rtc_fwd_len1360_factors_17_5_16_wgs_255_tpt_85_halfLds_sp_ip_CI_sbrr_dirReg, .Lfunc_end0-fft_rtc_fwd_len1360_factors_17_5_16_wgs_255_tpt_85_halfLds_sp_ip_CI_sbrr_dirReg
                                        ; -- End function
	.section	.AMDGPU.csdata,"",@progbits
; Kernel info:
; codeLenInByte = 12728
; NumSgprs: 28
; NumVgprs: 100
; ScratchSize: 0
; MemoryBound: 0
; FloatMode: 240
; IeeeMode: 1
; LDSByteSize: 0 bytes/workgroup (compile time only)
; SGPRBlocks: 3
; VGPRBlocks: 24
; NumSGPRsForWavesPerEU: 28
; NumVGPRsForWavesPerEU: 100
; Occupancy: 2
; WaveLimiterHint : 1
; COMPUTE_PGM_RSRC2:SCRATCH_EN: 0
; COMPUTE_PGM_RSRC2:USER_SGPR: 6
; COMPUTE_PGM_RSRC2:TRAP_HANDLER: 0
; COMPUTE_PGM_RSRC2:TGID_X_EN: 1
; COMPUTE_PGM_RSRC2:TGID_Y_EN: 0
; COMPUTE_PGM_RSRC2:TGID_Z_EN: 0
; COMPUTE_PGM_RSRC2:TIDIG_COMP_CNT: 0
	.type	__hip_cuid_1cd4e87337f2b01b,@object ; @__hip_cuid_1cd4e87337f2b01b
	.section	.bss,"aw",@nobits
	.globl	__hip_cuid_1cd4e87337f2b01b
__hip_cuid_1cd4e87337f2b01b:
	.byte	0                               ; 0x0
	.size	__hip_cuid_1cd4e87337f2b01b, 1

	.ident	"AMD clang version 19.0.0git (https://github.com/RadeonOpenCompute/llvm-project roc-6.4.0 25133 c7fe45cf4b819c5991fe208aaa96edf142730f1d)"
	.section	".note.GNU-stack","",@progbits
	.addrsig
	.addrsig_sym __hip_cuid_1cd4e87337f2b01b
	.amdgpu_metadata
---
amdhsa.kernels:
  - .args:
      - .actual_access:  read_only
        .address_space:  global
        .offset:         0
        .size:           8
        .value_kind:     global_buffer
      - .offset:         8
        .size:           8
        .value_kind:     by_value
      - .actual_access:  read_only
        .address_space:  global
        .offset:         16
        .size:           8
        .value_kind:     global_buffer
      - .actual_access:  read_only
        .address_space:  global
        .offset:         24
        .size:           8
        .value_kind:     global_buffer
      - .offset:         32
        .size:           8
        .value_kind:     by_value
      - .actual_access:  read_only
        .address_space:  global
        .offset:         40
        .size:           8
        .value_kind:     global_buffer
      - .actual_access:  read_only
        .address_space:  global
        .offset:         48
        .size:           8
        .value_kind:     global_buffer
      - .offset:         56
        .size:           4
        .value_kind:     by_value
      - .actual_access:  read_only
        .address_space:  global
        .offset:         64
        .size:           8
        .value_kind:     global_buffer
      - .actual_access:  read_only
        .address_space:  global
        .offset:         72
        .size:           8
        .value_kind:     global_buffer
      - .address_space:  global
        .offset:         80
        .size:           8
        .value_kind:     global_buffer
    .group_segment_fixed_size: 0
    .kernarg_segment_align: 8
    .kernarg_segment_size: 88
    .language:       OpenCL C
    .language_version:
      - 2
      - 0
    .max_flat_workgroup_size: 255
    .name:           fft_rtc_fwd_len1360_factors_17_5_16_wgs_255_tpt_85_halfLds_sp_ip_CI_sbrr_dirReg
    .private_segment_fixed_size: 0
    .sgpr_count:     28
    .sgpr_spill_count: 0
    .symbol:         fft_rtc_fwd_len1360_factors_17_5_16_wgs_255_tpt_85_halfLds_sp_ip_CI_sbrr_dirReg.kd
    .uniform_work_group_size: 1
    .uses_dynamic_stack: false
    .vgpr_count:     100
    .vgpr_spill_count: 0
    .wavefront_size: 64
amdhsa.target:   amdgcn-amd-amdhsa--gfx906
amdhsa.version:
  - 1
  - 2
...

	.end_amdgpu_metadata
